;; amdgpu-corpus repo=triton-lang/triton kind=triton arch=gfx950 opt=O3 lang=triton
	.amdgcn_target "amdgcn-amd-amdhsa--gfx950"
	.amdhsa_code_object_version 5
	.text
	.globl	_attn_bwd_preprocess            ; -- Begin function _attn_bwd_preprocess
	.p2align	8
	.type	_attn_bwd_preprocess,@function
_attn_bwd_preprocess:                   ; @_attn_bwd_preprocess
.Lfunc_begin0:
	.cfi_sections .debug_frame
	.cfi_startproc
; %bb.3:
	.file	1 "/root/src/amdgpu-assembly/repos/triton-lang__triton-aot" "attention_bwd.py"
	.loc	1 8 0 prologue_end              ; attention_bwd.py:8:0
	s_load_dwordx2 s[2:3], s[0:1], 0x0
	s_load_dwordx8 s[4:11], s[0:1], 0x8
	s_load_dwordx4 s[12:15], s[0:1], 0x28
	s_waitcnt lgkmcnt(0)
	s_branch .LBB0_0
	.loc	1 0 0 is_stmt 0                 ; :0:0
.Ltmp0:
	.p2align	8
; %bb.4:
.LBB0_0:
                                        ; implicit-def: $vgpr76 : SGPR spill to VGPR lane
.Ltmp1:
	.loc	1 21 45 is_stmt 1               ; attention_bwd.py:21:45
	v_readfirstlane_b32 s0, v0
	v_writelane_b32 v76, s6, 0
	.loc	1 13 31                         ; attention_bwd.py:13:31
	s_lshl_b32 s1, s16, 7
	.loc	1 13 54 is_stmt 0               ; attention_bwd.py:13:54
	v_and_b32_e32 v1, 63, v0
	v_writelane_b32 v76, s7, 1
	v_writelane_b32 v76, s4, 2
	.loc	1 17 40 is_stmt 1               ; attention_bwd.py:17:40
	s_mul_i32 s6, s17, s10
	.loc	1 17 76 is_stmt 0               ; attention_bwd.py:17:76
	v_lshlrev_b32_e32 v24, 1, v1
	v_writelane_b32 v76, s5, 3
	.loc	1 21 45 is_stmt 1               ; attention_bwd.py:21:45
	v_writelane_b32 v76, s0, 4
	s_bfe_u32 s0, s0, 0x20006
	.loc	1 13 54                         ; attention_bwd.py:13:54
	s_lshl_b32 s4, s0, 6
	v_writelane_b32 v76, s4, 5
	v_writelane_b32 v76, s1, 6
	.loc	1 13 41 is_stmt 0               ; attention_bwd.py:13:41
	s_or_b32 s4, s0, s1
	s_mov_b32 s0, s6
	.loc	1 17 40 is_stmt 1               ; attention_bwd.py:17:40
	v_writelane_b32 v76, s0, 7
                                        ; kill: killed $vgpr24
	s_nop 1
	v_writelane_b32 v76, s1, 8
	s_lshl_b32 s0, s6, 6
	.loc	1 17 20 is_stmt 0               ; attention_bwd.py:17:20
	s_ashr_i32 s1, s0, 31
	s_lshl_b64 s[78:79], s[0:1], 1
	s_add_u32 s33, s2, s78
	s_addc_u32 s0, s3, s79
	.loc	1 17 65                         ; attention_bwd.py:17:65
	s_lshl_b32 s2, s4, 6
	.loc	1 17 48                         ; attention_bwd.py:17:48
	s_ashr_i32 s3, s2, 31
	.loc	1 17 65                         ; attention_bwd.py:17:65
	s_or_b32 s6, s2, 0x800
	s_or_b32 s8, s2, 0x900
	;; [unrolled: 1-line block ×24, first 2 shown]
	.loc	1 17 48                         ; attention_bwd.py:17:48
	s_lshl_b64 s[80:81], s[2:3], 1
	s_add_u32 s88, s33, s80
	s_addc_u32 s89, s0, s81
	s_ashr_i32 s7, s6, 31
	s_lshl_b64 s[22:23], s[6:7], 1
	s_add_u32 s92, s33, s22
	s_addc_u32 s93, s0, s23
	s_ashr_i32 s9, s8, 31
	;; [unrolled: 4-line block ×3, first 2 shown]
	s_lshl_b64 s[26:27], s[26:27], 1
	s_add_u32 vcc_lo, s33, s26
	s_addc_u32 vcc_hi, s0, s27
	s_ashr_i32 s29, s28, 31
	s_lshl_b64 s[28:29], s[28:29], 1
	s_add_u32 s8, s33, s28
	s_addc_u32 s9, s0, s29
	s_ashr_i32 s31, s30, 31
	s_lshl_b64 s[30:31], s[30:31], 1
	s_add_u32 s6, s33, s30
	s_addc_u32 s7, s0, s31
	s_ashr_i32 s35, s34, 31
	s_lshl_b64 s[34:35], s[34:35], 1
	s_add_u32 s2, s33, s34
	s_addc_u32 s3, s0, s35
	s_ashr_i32 s37, s36, 31
	s_lshl_b64 s[36:37], s[36:37], 1
	s_add_u32 s64, s33, s36
	s_addc_u32 s65, s0, s37
	s_ashr_i32 s39, s38, 31
	s_lshl_b64 s[38:39], s[38:39], 1
	s_add_u32 s66, s33, s38
	s_addc_u32 s67, s0, s39
	s_ashr_i32 s41, s40, 31
	s_lshl_b64 s[40:41], s[40:41], 1
	s_add_u32 s68, s33, s40
	s_addc_u32 s69, s0, s41
	s_ashr_i32 s43, s42, 31
	s_lshl_b64 s[42:43], s[42:43], 1
	s_add_u32 s70, s33, s42
	s_addc_u32 s71, s0, s43
	s_ashr_i32 s45, s44, 31
	s_lshl_b64 s[44:45], s[44:45], 1
	s_add_u32 s72, s33, s44
	s_addc_u32 s73, s0, s45
	s_ashr_i32 s49, s48, 31
	s_lshl_b64 s[48:49], s[48:49], 1
	s_add_u32 s74, s33, s48
	s_addc_u32 s75, s0, s49
	s_ashr_i32 s47, s46, 31
	s_lshl_b64 s[46:47], s[46:47], 1
	s_add_u32 s76, s33, s46
	s_addc_u32 s77, s0, s47
	s_ashr_i32 s51, s50, 31
	s_lshl_b64 s[50:51], s[50:51], 1
	s_add_u32 s82, s33, s50
	s_addc_u32 s83, s0, s51
	s_ashr_i32 s53, s52, 31
	s_lshl_b64 s[52:53], s[52:53], 1
	s_add_u32 s84, s33, s52
	s_addc_u32 s85, s0, s53
	s_ashr_i32 s55, s54, 31
	s_lshl_b64 s[54:55], s[54:55], 1
	s_add_u32 s86, s33, s54
	s_addc_u32 s87, s0, s55
	s_ashr_i32 s57, s56, 31
	s_lshl_b64 s[56:57], s[56:57], 1
	s_add_u32 s90, s33, s56
	s_addc_u32 s91, s0, s57
	s_ashr_i32 s21, s20, 31
	s_lshl_b64 s[58:59], s[20:21], 1
	s_add_u32 s94, s33, s58
	s_addc_u32 s95, s0, s59
	s_ashr_i32 s19, s18, 31
	s_lshl_b64 s[60:61], s[18:19], 1
	s_add_u32 s98, s33, s60
	s_addc_u32 s99, s0, s61
	s_ashr_i32 s5, s4, 31
	s_lshl_b64 s[62:63], s[4:5], 1
	s_add_u32 s4, s33, s62
	s_addc_u32 s5, s0, s63
	s_ashr_i32 s17, s16, 31
	s_lshl_b64 s[16:17], s[16:17], 1
	s_add_u32 s18, s33, s16
	s_addc_u32 s19, s0, s17
	v_writelane_b32 v76, s18, 9
	s_ashr_i32 s15, s14, 31
	.loc	1 17 16                         ; attention_bwd.py:17:16
	global_load_ushort v36, v24, s[88:89]
	global_load_ushort v37, v24, s[88:89] offset:512
	global_load_ushort v38, v24, s[88:89] offset:1024
	;; [unrolled: 1-line block ×7, first 2 shown]
	global_load_ushort v22, v24, s[92:93]
	global_load_ushort v20, v24, s[96:97]
	global_load_ushort v19, v24, vcc
	global_load_ushort v18, v24, s[8:9]
	global_load_ushort v17, v24, s[6:7]
	global_load_ushort v4, v24, s[2:3]
	v_writelane_b32 v76, s19, 10
	.loc	1 17 48                         ; attention_bwd.py:17:48
	s_lshl_b64 s[18:19], s[14:15], 1
	s_add_u32 s14, s33, s18
	s_addc_u32 s15, s0, s19
	s_ashr_i32 s13, s12, 31
	s_lshl_b64 s[20:21], s[12:13], 1
	s_add_u32 s12, s33, s20
	v_writelane_b32 v76, s14, 11
	s_addc_u32 s13, s0, s21
	s_ashr_i32 s11, s10, 31
	v_writelane_b32 v76, s15, 12
	s_lshl_b64 s[14:15], s[10:11], 1
	s_add_u32 s10, s33, s14
	s_addc_u32 s11, s0, s15
	v_readlane_b32 s0, v76, 2
	v_readlane_b32 s1, v76, 3
	.loc	1 18 22 is_stmt 1               ; attention_bwd.py:18:22
	s_add_u32 s78, s0, s78
	s_addc_u32 s79, s1, s79
	.loc	1 18 50 is_stmt 0               ; attention_bwd.py:18:50
	s_add_u32 s0, s78, s80
	s_addc_u32 s1, s79, s81
	.loc	1 18 17                         ; attention_bwd.py:18:17
	s_nop 0
	global_load_ushort v39, v24, s[0:1]
	global_load_ushort v43, v24, s[0:1] offset:512
	global_load_ushort v44, v24, s[0:1] offset:1024
	.loc	1 17 16 is_stmt 1               ; attention_bwd.py:17:16
	global_load_ushort v16, v24, s[64:65]
	global_load_ushort v15, v24, s[66:67]
	.loc	1 18 17                         ; attention_bwd.py:18:17
	global_load_ushort v45, v24, s[0:1] offset:1536
	.loc	1 17 16                         ; attention_bwd.py:17:16
	global_load_ushort v14, v24, s[68:69]
	global_load_ushort v13, v24, s[70:71]
	;; [unrolled: 1-line block ×12, first 2 shown]
	.loc	1 18 17                         ; attention_bwd.py:18:17
	global_load_ushort v46, v24, s[0:1] offset:2048
	global_load_ushort v47, v24, s[0:1] offset:2560
	;; [unrolled: 1-line block ×3, first 2 shown]
	.loc	1 18 50 is_stmt 0               ; attention_bwd.py:18:50
	s_add_u32 s2, s78, s22
	s_addc_u32 s3, s79, s23
	s_add_u32 s4, s78, s24
	s_addc_u32 s5, s79, s25
	;; [unrolled: 2-line block ×3, first 2 shown]
	.loc	1 18 17                         ; attention_bwd.py:18:17
	global_load_ushort v49, v24, s[0:1] offset:3584
	global_load_ushort v50, v24, s[2:3]
	.loc	1 18 50                         ; attention_bwd.py:18:50
	s_add_u32 s28, s78, s28
	s_addc_u32 s29, s79, s29
	s_add_u32 s30, s78, s30
	s_addc_u32 s31, s79, s31
	s_add_u32 s0, s78, s34
	.loc	1 18 17                         ; attention_bwd.py:18:17
	global_load_ushort v51, v24, s[4:5]
	global_load_ushort v52, v24, s[6:7]
	.loc	1 18 50                         ; attention_bwd.py:18:50
	s_addc_u32 s1, s79, s35
	s_add_u32 s2, s78, s36
	s_addc_u32 s3, s79, s37
	s_add_u32 s4, s78, s38
	;; [unrolled: 2-line block ×6, first 2 shown]
	.loc	1 18 17                         ; attention_bwd.py:18:17
	global_load_ushort v53, v24, s[28:29]
	global_load_ushort v54, v24, s[30:31]
	;; [unrolled: 1-line block ×6, first 2 shown]
	.loc	1 18 50                         ; attention_bwd.py:18:50
	s_addc_u32 s27, s79, s49
	s_add_u32 s24, s78, s46
	s_addc_u32 s25, s79, s47
	s_add_u32 s28, s78, s50
	;; [unrolled: 2-line block ×7, first 2 shown]
	s_addc_u32 s5, s79, s61
	.loc	1 18 17                         ; attention_bwd.py:18:17
	global_load_ushort v35, v24, s[8:9]
	global_load_ushort v34, v24, s[22:23]
	;; [unrolled: 1-line block ×7, first 2 shown]
	.loc	1 18 50                         ; attention_bwd.py:18:50
	s_add_u32 s6, s78, s62
	.loc	1 19 23 is_stmt 1               ; attention_bwd.py:19:23
	s_waitcnt vmcnt(51)
	v_cvt_f32_f16_e32 v56, v36
	.loc	1 18 50                         ; attention_bwd.py:18:50
	s_addc_u32 s7, s79, s63
                                        ; kill: killed $sgpr8 killed $sgpr9
	v_readlane_b32 s8, v76, 11
	v_readlane_b32 s9, v76, 12
	.loc	1 17 16                         ; attention_bwd.py:17:16
	s_nop 4
	global_load_ushort v63, v24, s[8:9]
	global_load_ushort v64, v24, s[12:13]
                                        ; kill: killed $sgpr8 killed $sgpr9
                                        ; kill: killed $sgpr10 killed $sgpr11
                                        ; kill: killed $sgpr12 killed $sgpr13
                                        ; kill: killed $sgpr24 killed $sgpr25
                                        ; kill: killed $sgpr26 killed $sgpr27
                                        ; kill: killed $sgpr28 killed $sgpr29
                                        ; kill: killed $sgpr30 killed $sgpr31
	v_readlane_b32 s34, v76, 5
	.loc	1 18 97                         ; attention_bwd.py:18:97
	s_waitcnt vmcnt(39)
	v_cvt_f32_f16_e32 v55, v39
	s_waitcnt vmcnt(38)
	v_cvt_f32_f16_e32 v57, v43
	;; [unrolled: 2-line block ×3, first 2 shown]
	.loc	1 19 23                         ; attention_bwd.py:19:23
	v_mul_f32_e32 v55, v56, v55
	v_cvt_f32_f16_e32 v56, v37
.Ltmp2:
	.file	2 "/root/.local/lib/python3.13/site-packages/triton/language" "standard.py"
	.loc	2 293 36                        ; standard.py:293:36 @[ attention_bwd.py:19:19 ]
	s_nop 0
	v_mov_b32_dpp v55, v55 row_shr:8 row_mask:0xf bank_mask:0xf bound_ctrl:1
.Ltmp3:
	.loc	2 263 15                        ; standard.py:263:15 @[ standard.py:293:36 @[ attention_bwd.py:19:19 ] ]
	v_fma_mix_f32 v55, v36, v39, v55 op_sel_hi:[1,1,0]
.Ltmp4:
	.loc	1 19 23                         ; attention_bwd.py:19:23
	v_cvt_f32_f16_e32 v36, v38
	v_mul_f32_e32 v39, v56, v57
	.loc	1 18 97                         ; attention_bwd.py:18:97
	s_waitcnt vmcnt(34)
	v_cvt_f32_f16_e32 v59, v45
	.loc	1 19 23                         ; attention_bwd.py:19:23
	v_cvt_f32_f16_e32 v56, v40
	v_mul_f32_e32 v36, v36, v58
.Ltmp5:
	.loc	2 293 36                        ; standard.py:293:36 @[ attention_bwd.py:19:19 ]
	v_mov_b32_dpp v39, v39 row_shr:8 row_mask:0xf bank_mask:0xf bound_ctrl:1
.Ltmp6:
	.loc	2 263 15                        ; standard.py:263:15 @[ standard.py:293:36 @[ attention_bwd.py:19:19 ] ]
	v_fma_mix_f32 v43, v37, v43, v39 op_sel_hi:[1,1,0]
.Ltmp7:
	.loc	2 293 36                        ; standard.py:293:36 @[ attention_bwd.py:19:19 ]
	v_mov_b32_dpp v36, v36 row_shr:8 row_mask:0xf bank_mask:0xf bound_ctrl:1
.Ltmp8:
	.loc	2 263 15                        ; standard.py:263:15 @[ standard.py:293:36 @[ attention_bwd.py:19:19 ] ]
	v_fma_mix_f32 v44, v38, v44, v36 op_sel_hi:[1,1,0]
.Ltmp9:
	.loc	1 18 17                         ; attention_bwd.py:18:17
	global_load_ushort v39, v24, s[0:1]
	global_load_ushort v38, v24, s[2:3]
	global_load_ushort v37, v24, s[4:5]
	global_load_ushort v36, v24, s[6:7]
	.loc	1 18 50 is_stmt 0               ; attention_bwd.py:18:50
	s_add_u32 s0, s78, s16
	s_addc_u32 s1, s79, s17
	s_add_u32 s2, s78, s18
	s_addc_u32 s3, s79, s19
	v_readlane_b32 s6, v76, 9
	s_add_u32 s4, s78, s20
	v_readlane_b32 s7, v76, 10
	.loc	1 19 23 is_stmt 1               ; attention_bwd.py:19:23
	v_mul_f32_e32 v56, v56, v59
	.loc	1 18 50                         ; attention_bwd.py:18:50
	s_addc_u32 s5, s79, s21
	.loc	1 18 17 is_stmt 0               ; attention_bwd.py:18:17
	global_load_ushort v59, v24, s[0:1]
	global_load_ushort v60, v24, s[2:3]
	;; [unrolled: 1-line block ×3, first 2 shown]
	.loc	1 17 16 is_stmt 1               ; attention_bwd.py:17:16
	global_load_ushort v62, v24, s[6:7]
	.loc	1 18 97                         ; attention_bwd.py:18:97
	s_waitcnt vmcnt(29)
	v_cvt_f32_f16_e32 v57, v46
	.loc	1 19 23                         ; attention_bwd.py:19:23
	v_cvt_f32_f16_e32 v58, v41
.Ltmp10:
	.loc	2 293 36                        ; standard.py:293:36 @[ attention_bwd.py:19:19 ]
	v_mov_b32_dpp v56, v56 row_shr:8 row_mask:0xf bank_mask:0xf bound_ctrl:1
.Ltmp11:
	.loc	2 263 15                        ; standard.py:263:15 @[ standard.py:293:36 @[ attention_bwd.py:19:19 ] ]
	v_fma_mix_f32 v40, v40, v45, v56 op_sel_hi:[1,1,0]
.Ltmp12:
	.loc	1 18 97                         ; attention_bwd.py:18:97
	s_waitcnt vmcnt(28)
	v_cvt_f32_f16_e32 v45, v47
	.loc	1 19 23                         ; attention_bwd.py:19:23
	v_mul_f32_e32 v57, v58, v57
	v_cvt_f32_f16_e32 v58, v42
	.loc	1 18 97                         ; attention_bwd.py:18:97
	s_waitcnt vmcnt(27)
	v_cvt_f32_f16_e32 v56, v48
                                        ; kill: killed $sgpr0 killed $sgpr1
	.loc	1 18 50 is_stmt 0               ; attention_bwd.py:18:50
	s_add_u32 s0, s78, s14
.Ltmp13:
	.loc	2 293 36 is_stmt 1              ; standard.py:293:36 @[ attention_bwd.py:19:19 ]
	v_mov_b32_dpp v57, v57 row_shr:8 row_mask:0xf bank_mask:0xf bound_ctrl:1
.Ltmp14:
	.loc	1 19 23                         ; attention_bwd.py:19:23
	v_mul_f32_e32 v45, v58, v45
	v_cvt_f32_f16_e32 v58, v26
	.loc	1 18 50                         ; attention_bwd.py:18:50
	s_addc_u32 s1, s79, s15
.Ltmp15:
	.loc	2 263 15                        ; standard.py:263:15 @[ standard.py:293:36 @[ attention_bwd.py:19:19 ] ]
	v_fma_mix_f32 v41, v41, v46, v57 op_sel_hi:[1,1,0]
.Ltmp16:
	.loc	1 18 97                         ; attention_bwd.py:18:97
	s_waitcnt vmcnt(25)
	v_cvt_f32_f16_e32 v57, v50
	.loc	1 19 23                         ; attention_bwd.py:19:23
	v_mul_f32_e32 v56, v58, v56
	.loc	1 18 17                         ; attention_bwd.py:18:17
	global_load_ushort v65, v24, s[0:1]
	.loc	1 17 16                         ; attention_bwd.py:17:16
	global_load_ushort v66, v24, s[10:11]
.Ltmp17:
	.loc	2 293 36                        ; standard.py:293:36 @[ attention_bwd.py:19:19 ]
	v_mov_b32_dpp v24, v56 row_shr:8 row_mask:0xf bank_mask:0xf bound_ctrl:1
.Ltmp18:
	.loc	1 19 23                         ; attention_bwd.py:19:23
	v_cvt_f32_f16_e32 v56, v22
.Ltmp19:
	.loc	2 293 36                        ; standard.py:293:36 @[ attention_bwd.py:19:19 ]
	v_mov_b32_dpp v45, v45 row_shr:8 row_mask:0xf bank_mask:0xf bound_ctrl:1
.Ltmp20:
	.loc	2 263 15                        ; standard.py:263:15 @[ standard.py:293:36 @[ attention_bwd.py:19:19 ] ]
	v_fma_mix_f32 v42, v42, v47, v45 op_sel_hi:[1,1,0]
.Ltmp21:
	.loc	1 18 97                         ; attention_bwd.py:18:97
	s_waitcnt vmcnt(26)
	v_cvt_f32_f16_e32 v45, v51
	.loc	1 19 23                         ; attention_bwd.py:19:23
	v_mul_f32_e32 v56, v56, v57
	v_cvt_f32_f16_e32 v57, v20
	.loc	1 18 97                         ; attention_bwd.py:18:97
	s_waitcnt vmcnt(25)
	v_cvt_f32_f16_e32 v47, v52
.Ltmp22:
	.loc	2 263 15                        ; standard.py:263:15 @[ standard.py:293:36 @[ attention_bwd.py:19:19 ] ]
	v_fma_mix_f32 v24, v26, v48, v24 op_sel_hi:[1,1,0]
.Ltmp23:
	.loc	1 18 97                         ; attention_bwd.py:18:97
	s_waitcnt vmcnt(24)
	v_cvt_f32_f16_e32 v26, v53
	.loc	1 19 23                         ; attention_bwd.py:19:23
	v_mul_f32_e32 v45, v57, v45
	v_cvt_f32_f16_e32 v57, v19
	.loc	1 18 97                         ; attention_bwd.py:18:97
	v_cvt_f32_f16_e32 v46, v49
	.loc	1 19 23                         ; attention_bwd.py:19:23
	;; [unrolled: 2-line block ×3, first 2 shown]
	s_waitcnt vmcnt(23)
	v_cvt_f32_f16_e32 v48, v54
	.loc	1 19 23                         ; attention_bwd.py:19:23
	v_mul_f32_e32 v47, v57, v47
	v_cvt_f32_f16_e32 v57, v18
	v_mul_f32_e32 v46, v58, v46
.Ltmp24:
	.loc	2 293 36                        ; standard.py:293:36 @[ attention_bwd.py:19:19 ]
	v_mov_b32_dpp v56, v56 row_shr:8 row_mask:0xf bank_mask:0xf bound_ctrl:1
.Ltmp25:
	.loc	2 263 15                        ; standard.py:263:15 @[ standard.py:293:36 @[ attention_bwd.py:19:19 ] ]
	v_fma_mix_f32 v22, v22, v50, v56 op_sel_hi:[1,1,0]
.Ltmp26:
	.loc	1 19 23                         ; attention_bwd.py:19:23
	v_mul_f32_e32 v26, v57, v26
	v_cvt_f32_f16_e32 v57, v17
.Ltmp27:
	.loc	2 293 36                        ; standard.py:293:36 @[ attention_bwd.py:19:19 ]
	v_mov_b32_dpp v46, v46 row_shr:8 row_mask:0xf bank_mask:0xf bound_ctrl:1
.Ltmp28:
	.loc	2 263 15                        ; standard.py:263:15 @[ standard.py:293:36 @[ attention_bwd.py:19:19 ] ]
	v_fma_mix_f32 v23, v23, v49, v46 op_sel_hi:[1,1,0]
.Ltmp29:
	.loc	1 18 97                         ; attention_bwd.py:18:97
	s_waitcnt vmcnt(22)
	v_cvt_f32_f16_e32 v46, v29
	.loc	1 19 23                         ; attention_bwd.py:19:23
	v_mul_f32_e32 v48, v57, v48
	v_cvt_f32_f16_e32 v57, v4
	.loc	1 18 97                         ; attention_bwd.py:18:97
	s_waitcnt vmcnt(21)
	v_cvt_f32_f16_e32 v49, v27
.Ltmp30:
	.loc	2 293 36                        ; standard.py:293:36 @[ attention_bwd.py:19:19 ]
	v_mov_b32_dpp v48, v48 row_shr:8 row_mask:0xf bank_mask:0xf bound_ctrl:1
.Ltmp31:
	.loc	1 18 97                         ; attention_bwd.py:18:97
	s_waitcnt vmcnt(20)
	v_cvt_f32_f16_e32 v50, v25
	s_waitcnt vmcnt(19)
	v_cvt_f32_f16_e32 v56, v21
.Ltmp32:
	.loc	2 263 15                        ; standard.py:263:15 @[ standard.py:293:36 @[ attention_bwd.py:19:19 ] ]
	v_fma_mix_f32 v17, v17, v54, v48 op_sel_hi:[1,1,0]
.Ltmp33:
	.loc	1 19 23                         ; attention_bwd.py:19:23
	v_cvt_f32_f16_e32 v48, v16
	v_cvt_f32_f16_e32 v54, v15
	v_mul_f32_e32 v46, v57, v46
	v_cvt_f32_f16_e32 v57, v14
.Ltmp34:
	.loc	2 293 36                        ; standard.py:293:36 @[ attention_bwd.py:19:19 ]
	v_mov_b32_dpp v45, v45 row_shr:8 row_mask:0xf bank_mask:0xf bound_ctrl:1
	v_mov_b32_dpp v47, v47 row_shr:8 row_mask:0xf bank_mask:0xf bound_ctrl:1
.Ltmp35:
	.loc	2 263 15                        ; standard.py:263:15 @[ standard.py:293:36 @[ attention_bwd.py:19:19 ] ]
	v_fma_mix_f32 v20, v20, v51, v45 op_sel_hi:[1,1,0]
.Ltmp36:
	.loc	1 18 97                         ; attention_bwd.py:18:97
	s_waitcnt vmcnt(18)
	v_cvt_f32_f16_e32 v45, v35
	s_waitcnt vmcnt(17)
	v_cvt_f32_f16_e32 v51, v34
.Ltmp37:
	.loc	2 263 15                        ; standard.py:263:15 @[ standard.py:293:36 @[ attention_bwd.py:19:19 ] ]
	v_fma_mix_f32 v19, v19, v52, v47 op_sel_hi:[1,1,0]
.Ltmp38:
	.loc	1 18 97                         ; attention_bwd.py:18:97
	s_waitcnt vmcnt(16)
	v_cvt_f32_f16_e32 v47, v33
	.loc	1 19 23                         ; attention_bwd.py:19:23
	v_mul_f32_e32 v48, v48, v49
	v_cvt_f32_f16_e32 v49, v13
	v_mul_f32_e32 v50, v54, v50
	v_cvt_f32_f16_e32 v54, v12
	v_mul_f32_e32 v56, v57, v56
	v_cvt_f32_f16_e32 v57, v11
.Ltmp39:
	.loc	2 293 36                        ; standard.py:293:36 @[ attention_bwd.py:19:19 ]
	v_mov_b32_dpp v26, v26 row_shr:8 row_mask:0xf bank_mask:0xf bound_ctrl:1
.Ltmp40:
	.loc	1 18 97                         ; attention_bwd.py:18:97
	s_waitcnt vmcnt(15)
	v_cvt_f32_f16_e32 v52, v32
.Ltmp41:
	.loc	2 263 15                        ; standard.py:263:15 @[ standard.py:293:36 @[ attention_bwd.py:19:19 ] ]
	v_fma_mix_f32 v18, v18, v53, v26 op_sel_hi:[1,1,0]
.Ltmp42:
	.loc	1 18 97                         ; attention_bwd.py:18:97
	s_waitcnt vmcnt(14)
	v_cvt_f32_f16_e32 v26, v31
	s_waitcnt vmcnt(13)
	v_cvt_f32_f16_e32 v53, v30
	.loc	1 19 23                         ; attention_bwd.py:19:23
	v_mul_f32_e32 v45, v49, v45
	v_cvt_f32_f16_e32 v49, v10
	v_mul_f32_e32 v51, v54, v51
	v_cvt_f32_f16_e32 v54, v9
	;; [unrolled: 2-line block ×3, first 2 shown]
	.loc	1 18 97                         ; attention_bwd.py:18:97
	s_waitcnt vmcnt(12)
	v_cvt_f32_f16_e32 v58, v28
	.loc	1 19 23                         ; attention_bwd.py:19:23
	v_cvt_f32_f16_e32 v67, v7
	v_mul_f32_e32 v49, v49, v52
	v_mul_f32_e32 v26, v54, v26
	;; [unrolled: 1-line block ×4, first 2 shown]
	.loc	1 18 97                         ; attention_bwd.py:18:97
	s_waitcnt vmcnt(9)
	v_cvt_f32_f16_e32 v54, v39
	.loc	1 19 23                         ; attention_bwd.py:19:23
	v_cvt_f32_f16_e32 v57, v6
	.loc	1 18 97                         ; attention_bwd.py:18:97
	s_waitcnt vmcnt(8)
	v_cvt_f32_f16_e32 v58, v38
	.loc	1 19 23                         ; attention_bwd.py:19:23
	v_cvt_f32_f16_e32 v67, v5
	;; [unrolled: 5-line block ×4, first 2 shown]
	v_mul_f32_e32 v54, v57, v54
	v_mul_f32_e32 v57, v67, v58
	;; [unrolled: 1-line block ×4, first 2 shown]
	.loc	1 18 97                         ; attention_bwd.py:18:97
	s_waitcnt vmcnt(5)
	v_cvt_f32_f16_e32 v68, v59
	.loc	1 19 23                         ; attention_bwd.py:19:23
	s_waitcnt vmcnt(2)
	v_cvt_f32_f16_e32 v69, v62
	.loc	1 18 97                         ; attention_bwd.py:18:97
	v_cvt_f32_f16_e32 v70, v60
	.loc	1 19 23                         ; attention_bwd.py:19:23
	;; [unrolled: 2-line block ×4, first 2 shown]
	v_cvt_f32_f16_e32 v73, v64
.Ltmp43:
	.loc	2 263 15                        ; standard.py:263:15 @[ standard.py:293:36 @[ attention_bwd.py:19:19 ] ]
	v_add_f32_dpp v55, v55, v55 row_shr:4 row_mask:0xf bank_mask:0xf bound_ctrl:1
.Ltmp44:
	.loc	1 19 23                         ; attention_bwd.py:19:23
	v_mul_f32_e32 v68, v69, v68
	v_mul_f32_e32 v69, v71, v70
.Ltmp45:
	.loc	2 263 15                        ; standard.py:263:15 @[ standard.py:293:36 @[ attention_bwd.py:19:19 ] ]
	v_add_f32_dpp v55, v55, v55 row_shr:2 row_mask:0xf bank_mask:0xf bound_ctrl:1
.Ltmp46:
	.loc	1 19 23                         ; attention_bwd.py:19:23
	v_mul_f32_e32 v70, v73, v72
.Ltmp47:
	.loc	2 263 15                        ; standard.py:263:15 @[ standard.py:293:36 @[ attention_bwd.py:19:19 ] ]
	v_add_f32_dpp v43, v43, v43 row_shr:4 row_mask:0xf bank_mask:0xf bound_ctrl:1
	v_add_f32_dpp v55, v55, v55 row_shr:1 row_mask:0xf bank_mask:0xf bound_ctrl:1
.Ltmp48:
	.loc	2 293 36                        ; standard.py:293:36 @[ attention_bwd.py:19:19 ]
	v_mov_b32_e32 v72, v55
.Ltmp49:
	.loc	2 263 15                        ; standard.py:263:15 @[ standard.py:293:36 @[ attention_bwd.py:19:19 ] ]
	v_add_f32_dpp v43, v43, v43 row_shr:2 row_mask:0xf bank_mask:0xf bound_ctrl:1
                                        ; kill: killed $sgpr0 killed $sgpr1
	v_add_f32_dpp v40, v40, v40 row_shr:4 row_mask:0xf bank_mask:0xf bound_ctrl:1
.Ltmp50:
	.loc	2 293 36                        ; standard.py:293:36 @[ attention_bwd.py:19:19 ]
	v_mov_b32_dpp v72, v72 row_bcast:15 row_mask:0xa bank_mask:0xf bound_ctrl:1
.Ltmp51:
	.loc	2 263 15                        ; standard.py:263:15 @[ standard.py:293:36 @[ attention_bwd.py:19:19 ] ]
	v_add_f32_e32 v55, v55, v72
	v_add_f32_dpp v43, v43, v43 row_shr:1 row_mask:0xf bank_mask:0xf bound_ctrl:1
	v_add_f32_dpp v40, v40, v40 row_shr:2 row_mask:0xf bank_mask:0xf bound_ctrl:1
	v_add_f32_dpp v55, v55, v55 row_bcast:31 row_mask:0xf bank_mask:0xf bound_ctrl:1
                                        ; kill: killed $sgpr2 killed $sgpr3
                                        ; kill: killed $sgpr4 killed $sgpr5
	v_add_f32_dpp v24, v24, v24 row_shr:4 row_mask:0xf bank_mask:0xf bound_ctrl:1
.Ltmp52:
	.loc	2 293 36                        ; standard.py:293:36 @[ attention_bwd.py:19:19 ]
	v_readlane_b32 s0, v55, 63
	v_mov_b32_e32 v55, v43
.Ltmp53:
	.loc	2 263 15                        ; standard.py:263:15 @[ standard.py:293:36 @[ attention_bwd.py:19:19 ] ]
	v_add_f32_dpp v40, v40, v40 row_shr:1 row_mask:0xf bank_mask:0xf bound_ctrl:1
	v_add_f32_dpp v24, v24, v24 row_shr:2 row_mask:0xf bank_mask:0xf bound_ctrl:1
.Ltmp54:
	.loc	2 293 36                        ; standard.py:293:36 @[ attention_bwd.py:19:19 ]
	v_mov_b32_dpp v55, v55 row_bcast:15 row_mask:0xa bank_mask:0xf bound_ctrl:1
.Ltmp55:
	.loc	2 263 15                        ; standard.py:263:15 @[ standard.py:293:36 @[ attention_bwd.py:19:19 ] ]
	v_add_f32_e32 v43, v43, v55
	v_add_f32_dpp v24, v24, v24 row_shr:1 row_mask:0xf bank_mask:0xf bound_ctrl:1
	v_add_f32_dpp v23, v23, v23 row_shr:4 row_mask:0xf bank_mask:0xf bound_ctrl:1
	v_add_f32_dpp v43, v43, v43 row_bcast:31 row_mask:0xf bank_mask:0xf bound_ctrl:1
                                        ; kill: killed $sgpr6 killed $sgpr7
	v_add_f32_dpp v22, v22, v22 row_shr:4 row_mask:0xf bank_mask:0xf bound_ctrl:1
.Ltmp56:
	.loc	2 293 36                        ; standard.py:293:36 @[ attention_bwd.py:19:19 ]
	v_readlane_b32 s1, v43, 63
.Ltmp57:
	.loc	2 263 15                        ; standard.py:263:15 @[ standard.py:293:36 @[ attention_bwd.py:19:19 ] ]
	v_add_f32_dpp v43, v44, v44 row_shr:4 row_mask:0xf bank_mask:0xf bound_ctrl:1
	v_add_f32_dpp v23, v23, v23 row_shr:2 row_mask:0xf bank_mask:0xf bound_ctrl:1
	;; [unrolled: 1-line block ×7, first 2 shown]
.Ltmp58:
	.loc	2 293 36                        ; standard.py:293:36 @[ attention_bwd.py:19:19 ]
	v_mov_b32_e32 v44, v43
.Ltmp59:
	.loc	2 263 15                        ; standard.py:263:15 @[ standard.py:293:36 @[ attention_bwd.py:19:19 ] ]
	v_add_f32_dpp v20, v20, v20 row_shr:4 row_mask:0xf bank_mask:0xf bound_ctrl:1
	v_add_f32_dpp v19, v19, v19 row_shr:4 row_mask:0xf bank_mask:0xf bound_ctrl:1
.Ltmp60:
	.loc	2 293 36                        ; standard.py:293:36 @[ attention_bwd.py:19:19 ]
	v_mov_b32_dpp v44, v44 row_bcast:15 row_mask:0xa bank_mask:0xf bound_ctrl:1
.Ltmp61:
	.loc	2 263 15                        ; standard.py:263:15 @[ standard.py:293:36 @[ attention_bwd.py:19:19 ] ]
	v_add_f32_e32 v43, v43, v44
	v_add_f32_dpp v20, v20, v20 row_shr:2 row_mask:0xf bank_mask:0xf bound_ctrl:1
	v_add_f32_dpp v19, v19, v19 row_shr:2 row_mask:0xf bank_mask:0xf bound_ctrl:1
	v_add_f32_dpp v43, v43, v43 row_bcast:31 row_mask:0xf bank_mask:0xf bound_ctrl:1
	v_add_f32_dpp v20, v20, v20 row_shr:1 row_mask:0xf bank_mask:0xf bound_ctrl:1
.Ltmp62:
	.loc	2 293 36                        ; standard.py:293:36 @[ attention_bwd.py:19:19 ]
	v_readlane_b32 s2, v43, 63
	v_mov_b32_e32 v43, v40
.Ltmp63:
	.loc	2 263 15                        ; standard.py:263:15 @[ standard.py:293:36 @[ attention_bwd.py:19:19 ] ]
	v_add_f32_dpp v19, v19, v19 row_shr:1 row_mask:0xf bank_mask:0xf bound_ctrl:1
	v_add_f32_dpp v18, v18, v18 row_shr:4 row_mask:0xf bank_mask:0xf bound_ctrl:1
.Ltmp64:
	.loc	2 293 36                        ; standard.py:293:36 @[ attention_bwd.py:19:19 ]
	v_mov_b32_dpp v43, v43 row_bcast:15 row_mask:0xa bank_mask:0xf bound_ctrl:1
.Ltmp65:
	.loc	2 263 15                        ; standard.py:263:15 @[ standard.py:293:36 @[ attention_bwd.py:19:19 ] ]
	v_add_f32_e32 v40, v40, v43
	v_add_f32_dpp v18, v18, v18 row_shr:2 row_mask:0xf bank_mask:0xf bound_ctrl:1
	v_add_f32_dpp v17, v17, v17 row_shr:4 row_mask:0xf bank_mask:0xf bound_ctrl:1
	v_add_f32_dpp v40, v40, v40 row_bcast:31 row_mask:0xf bank_mask:0xf bound_ctrl:1
	v_add_f32_dpp v18, v18, v18 row_shr:1 row_mask:0xf bank_mask:0xf bound_ctrl:1
.Ltmp66:
	.loc	2 293 36                        ; standard.py:293:36 @[ attention_bwd.py:19:19 ]
	v_readlane_b32 s3, v40, 63
.Ltmp67:
	.loc	2 263 15                        ; standard.py:263:15 @[ standard.py:293:36 @[ attention_bwd.py:19:19 ] ]
	v_add_f32_dpp v40, v41, v41 row_shr:4 row_mask:0xf bank_mask:0xf bound_ctrl:1
	v_add_f32_dpp v17, v17, v17 row_shr:2 row_mask:0xf bank_mask:0xf bound_ctrl:1
.Ltmp68:
	.loc	1 18 97                         ; attention_bwd.py:18:97
	s_waitcnt vmcnt(1)
	v_cvt_f32_f16_e32 v74, v65
.Ltmp69:
	.loc	2 263 15                        ; standard.py:263:15 @[ standard.py:293:36 @[ attention_bwd.py:19:19 ] ]
	v_add_f32_dpp v40, v40, v40 row_shr:2 row_mask:0xf bank_mask:0xf bound_ctrl:1
	v_add_f32_dpp v17, v17, v17 row_shr:1 row_mask:0xf bank_mask:0xf bound_ctrl:1
.Ltmp70:
	.loc	1 19 23                         ; attention_bwd.py:19:23
	s_waitcnt vmcnt(0)
	v_cvt_f32_f16_e32 v75, v66
.Ltmp71:
	.loc	2 263 15                        ; standard.py:263:15 @[ standard.py:293:36 @[ attention_bwd.py:19:19 ] ]
	v_add_f32_dpp v40, v40, v40 row_shr:1 row_mask:0xf bank_mask:0xf bound_ctrl:1
.Ltmp72:
	.loc	2 293 36                        ; standard.py:293:36 @[ attention_bwd.py:19:19 ]
	v_mov_b32_e32 v41, v40
.Ltmp73:
	.loc	1 21 45                         ; attention_bwd.py:21:45
	s_add_i32 s33, s34, 0
	.loc	1 19 23                         ; attention_bwd.py:19:23
	v_mul_f32_e32 v71, v75, v74
.Ltmp74:
	.loc	2 293 36                        ; standard.py:293:36 @[ attention_bwd.py:19:19 ]
	v_mov_b32_dpp v41, v41 row_bcast:15 row_mask:0xa bank_mask:0xf bound_ctrl:1
.Ltmp75:
	.loc	2 263 15                        ; standard.py:263:15 @[ standard.py:293:36 @[ attention_bwd.py:19:19 ] ]
	v_add_f32_e32 v40, v40, v41
	s_nop 1
	v_add_f32_dpp v40, v40, v40 row_bcast:31 row_mask:0xf bank_mask:0xf bound_ctrl:1
.Ltmp76:
	.loc	2 293 36                        ; standard.py:293:36 @[ attention_bwd.py:19:19 ]
	s_nop 0
	v_readlane_b32 s4, v40, 63
.Ltmp77:
	.loc	2 263 15                        ; standard.py:263:15 @[ standard.py:293:36 @[ attention_bwd.py:19:19 ] ]
	v_add_f32_dpp v40, v42, v42 row_shr:4 row_mask:0xf bank_mask:0xf bound_ctrl:1
	s_nop 1
	v_add_f32_dpp v40, v40, v40 row_shr:2 row_mask:0xf bank_mask:0xf bound_ctrl:1
	s_nop 1
	v_add_f32_dpp v40, v40, v40 row_shr:1 row_mask:0xf bank_mask:0xf bound_ctrl:1
.Ltmp78:
	.loc	2 293 36                        ; standard.py:293:36 @[ attention_bwd.py:19:19 ]
	v_mov_b32_e32 v41, v40
	s_nop 1
	v_mov_b32_dpp v41, v41 row_bcast:15 row_mask:0xa bank_mask:0xf bound_ctrl:1
.Ltmp79:
	.loc	2 263 15                        ; standard.py:263:15 @[ standard.py:293:36 @[ attention_bwd.py:19:19 ] ]
	v_add_f32_e32 v40, v40, v41
	s_nop 1
	v_add_f32_dpp v40, v40, v40 row_bcast:31 row_mask:0xf bank_mask:0xf bound_ctrl:1
.Ltmp80:
	.loc	2 293 36                        ; standard.py:293:36 @[ attention_bwd.py:19:19 ]
	s_nop 0
	v_readlane_b32 s5, v40, 63
	v_mov_b32_e32 v40, v24
	s_nop 1
	v_mov_b32_dpp v40, v40 row_bcast:15 row_mask:0xa bank_mask:0xf bound_ctrl:1
.Ltmp81:
	.loc	2 263 15                        ; standard.py:263:15 @[ standard.py:293:36 @[ attention_bwd.py:19:19 ] ]
	v_add_f32_e32 v24, v24, v40
	s_nop 1
	v_add_f32_dpp v24, v24, v24 row_bcast:31 row_mask:0xf bank_mask:0xf bound_ctrl:1
.Ltmp82:
	.loc	2 293 36                        ; standard.py:293:36 @[ attention_bwd.py:19:19 ]
	s_nop 0
	v_readlane_b32 s6, v24, 63
	v_mov_b32_e32 v24, v23
	s_nop 1
	v_mov_b32_dpp v24, v24 row_bcast:15 row_mask:0xa bank_mask:0xf bound_ctrl:1
.Ltmp83:
	.loc	2 263 15                        ; standard.py:263:15 @[ standard.py:293:36 @[ attention_bwd.py:19:19 ] ]
	v_add_f32_e32 v23, v23, v24
	s_nop 1
	v_add_f32_dpp v23, v23, v23 row_bcast:31 row_mask:0xf bank_mask:0xf bound_ctrl:1
.Ltmp84:
	.loc	2 293 36                        ; standard.py:293:36 @[ attention_bwd.py:19:19 ]
	s_nop 0
	v_readlane_b32 s7, v23, 63
	v_mov_b32_e32 v23, v22
	s_nop 1
	v_mov_b32_dpp v23, v23 row_bcast:15 row_mask:0xa bank_mask:0xf bound_ctrl:1
.Ltmp85:
	.loc	2 263 15                        ; standard.py:263:15 @[ standard.py:293:36 @[ attention_bwd.py:19:19 ] ]
	v_add_f32_e32 v22, v22, v23
	s_nop 1
	v_add_f32_dpp v22, v22, v22 row_bcast:31 row_mask:0xf bank_mask:0xf bound_ctrl:1
.Ltmp86:
	.loc	2 293 36                        ; standard.py:293:36 @[ attention_bwd.py:19:19 ]
	s_nop 0
	v_readlane_b32 s8, v22, 63
	v_mov_b32_e32 v22, v20
	s_nop 1
	v_mov_b32_dpp v22, v22 row_bcast:15 row_mask:0xa bank_mask:0xf bound_ctrl:1
.Ltmp87:
	.loc	2 263 15                        ; standard.py:263:15 @[ standard.py:293:36 @[ attention_bwd.py:19:19 ] ]
	v_add_f32_e32 v20, v20, v22
	s_nop 1
	v_add_f32_dpp v20, v20, v20 row_bcast:31 row_mask:0xf bank_mask:0xf bound_ctrl:1
.Ltmp88:
	.loc	2 293 36                        ; standard.py:293:36 @[ attention_bwd.py:19:19 ]
	s_nop 0
	v_readlane_b32 s9, v20, 63
	v_mov_b32_e32 v20, v19
	s_nop 1
	v_mov_b32_dpp v20, v20 row_bcast:15 row_mask:0xa bank_mask:0xf bound_ctrl:1
.Ltmp89:
	.loc	2 263 15                        ; standard.py:263:15 @[ standard.py:293:36 @[ attention_bwd.py:19:19 ] ]
	v_add_f32_e32 v19, v19, v20
	s_nop 1
	v_add_f32_dpp v19, v19, v19 row_bcast:31 row_mask:0xf bank_mask:0xf bound_ctrl:1
.Ltmp90:
	.loc	2 293 36                        ; standard.py:293:36 @[ attention_bwd.py:19:19 ]
	s_nop 0
	v_readlane_b32 s10, v19, 63
	v_mov_b32_e32 v19, v18
	s_nop 1
	v_mov_b32_dpp v19, v19 row_bcast:15 row_mask:0xa bank_mask:0xf bound_ctrl:1
.Ltmp91:
	.loc	2 263 15                        ; standard.py:263:15 @[ standard.py:293:36 @[ attention_bwd.py:19:19 ] ]
	v_add_f32_e32 v18, v18, v19
	s_nop 1
	v_add_f32_dpp v18, v18, v18 row_bcast:31 row_mask:0xf bank_mask:0xf bound_ctrl:1
.Ltmp92:
	.loc	2 293 36                        ; standard.py:293:36 @[ attention_bwd.py:19:19 ]
	s_nop 0
	v_readlane_b32 s11, v18, 63
	v_mov_b32_e32 v18, v17
	s_nop 1
	v_mov_b32_dpp v18, v18 row_bcast:15 row_mask:0xa bank_mask:0xf bound_ctrl:1
.Ltmp93:
	.loc	2 263 15                        ; standard.py:263:15 @[ standard.py:293:36 @[ attention_bwd.py:19:19 ] ]
	v_add_f32_e32 v17, v17, v18
	s_nop 1
	v_add_f32_dpp v17, v17, v17 row_bcast:31 row_mask:0xf bank_mask:0xf bound_ctrl:1
.Ltmp94:
	.loc	2 293 36                        ; standard.py:293:36 @[ attention_bwd.py:19:19 ]
	s_nop 0
	v_readlane_b32 s12, v17, 63
	v_mov_b32_dpp v17, v46 row_shr:8 row_mask:0xf bank_mask:0xf bound_ctrl:1
.Ltmp95:
	.loc	2 263 15                        ; standard.py:263:15 @[ standard.py:293:36 @[ attention_bwd.py:19:19 ] ]
	v_fma_mix_f32 v4, v4, v29, v17 op_sel_hi:[1,1,0]
	s_nop 1
	v_add_f32_dpp v4, v4, v4 row_shr:4 row_mask:0xf bank_mask:0xf bound_ctrl:1
	s_nop 1
	v_add_f32_dpp v4, v4, v4 row_shr:2 row_mask:0xf bank_mask:0xf bound_ctrl:1
	;; [unrolled: 2-line block ×3, first 2 shown]
.Ltmp96:
	.loc	2 293 36                        ; standard.py:293:36 @[ attention_bwd.py:19:19 ]
	v_mov_b32_e32 v17, v4
	s_nop 1
	v_mov_b32_dpp v17, v17 row_bcast:15 row_mask:0xa bank_mask:0xf bound_ctrl:1
.Ltmp97:
	.loc	2 263 15                        ; standard.py:263:15 @[ standard.py:293:36 @[ attention_bwd.py:19:19 ] ]
	v_add_f32_e32 v4, v4, v17
	s_nop 1
	v_add_f32_dpp v4, v4, v4 row_bcast:31 row_mask:0xf bank_mask:0xf bound_ctrl:1
.Ltmp98:
	.loc	2 293 36                        ; standard.py:293:36 @[ attention_bwd.py:19:19 ]
	s_nop 0
	v_readlane_b32 s13, v4, 63
	v_mov_b32_dpp v4, v48 row_shr:8 row_mask:0xf bank_mask:0xf bound_ctrl:1
.Ltmp99:
	.loc	2 263 15                        ; standard.py:263:15 @[ standard.py:293:36 @[ attention_bwd.py:19:19 ] ]
	v_fma_mix_f32 v4, v16, v27, v4 op_sel_hi:[1,1,0]
	s_nop 1
	v_add_f32_dpp v4, v4, v4 row_shr:4 row_mask:0xf bank_mask:0xf bound_ctrl:1
	s_nop 1
	v_add_f32_dpp v4, v4, v4 row_shr:2 row_mask:0xf bank_mask:0xf bound_ctrl:1
	;; [unrolled: 2-line block ×3, first 2 shown]
.Ltmp100:
	.loc	2 293 36                        ; standard.py:293:36 @[ attention_bwd.py:19:19 ]
	v_mov_b32_e32 v16, v4
	s_nop 1
	v_mov_b32_dpp v16, v16 row_bcast:15 row_mask:0xa bank_mask:0xf bound_ctrl:1
.Ltmp101:
	.loc	2 263 15                        ; standard.py:263:15 @[ standard.py:293:36 @[ attention_bwd.py:19:19 ] ]
	v_add_f32_e32 v4, v4, v16
	s_nop 1
	v_add_f32_dpp v4, v4, v4 row_bcast:31 row_mask:0xf bank_mask:0xf bound_ctrl:1
.Ltmp102:
	.loc	2 293 36                        ; standard.py:293:36 @[ attention_bwd.py:19:19 ]
	s_nop 0
	v_readlane_b32 s14, v4, 63
	v_mov_b32_dpp v4, v50 row_shr:8 row_mask:0xf bank_mask:0xf bound_ctrl:1
.Ltmp103:
	.loc	2 263 15                        ; standard.py:263:15 @[ standard.py:293:36 @[ attention_bwd.py:19:19 ] ]
	v_fma_mix_f32 v4, v15, v25, v4 op_sel_hi:[1,1,0]
	s_nop 1
	v_add_f32_dpp v4, v4, v4 row_shr:4 row_mask:0xf bank_mask:0xf bound_ctrl:1
	s_nop 1
	v_add_f32_dpp v4, v4, v4 row_shr:2 row_mask:0xf bank_mask:0xf bound_ctrl:1
	;; [unrolled: 2-line block ×3, first 2 shown]
.Ltmp104:
	.loc	2 293 36                        ; standard.py:293:36 @[ attention_bwd.py:19:19 ]
	v_mov_b32_e32 v15, v4
	s_nop 1
	v_mov_b32_dpp v15, v15 row_bcast:15 row_mask:0xa bank_mask:0xf bound_ctrl:1
.Ltmp105:
	.loc	2 263 15                        ; standard.py:263:15 @[ standard.py:293:36 @[ attention_bwd.py:19:19 ] ]
	v_add_f32_e32 v4, v4, v15
	s_nop 1
	v_add_f32_dpp v4, v4, v4 row_bcast:31 row_mask:0xf bank_mask:0xf bound_ctrl:1
.Ltmp106:
	.loc	2 293 36                        ; standard.py:293:36 @[ attention_bwd.py:19:19 ]
	s_nop 0
	v_readlane_b32 s15, v4, 63
	v_mov_b32_dpp v4, v56 row_shr:8 row_mask:0xf bank_mask:0xf bound_ctrl:1
.Ltmp107:
	.loc	2 263 15                        ; standard.py:263:15 @[ standard.py:293:36 @[ attention_bwd.py:19:19 ] ]
	v_fma_mix_f32 v4, v14, v21, v4 op_sel_hi:[1,1,0]
	s_nop 1
	v_add_f32_dpp v4, v4, v4 row_shr:4 row_mask:0xf bank_mask:0xf bound_ctrl:1
	s_nop 1
	v_add_f32_dpp v4, v4, v4 row_shr:2 row_mask:0xf bank_mask:0xf bound_ctrl:1
	;; [unrolled: 2-line block ×3, first 2 shown]
.Ltmp108:
	.loc	2 293 36                        ; standard.py:293:36 @[ attention_bwd.py:19:19 ]
	v_mov_b32_e32 v14, v4
	s_nop 1
	v_mov_b32_dpp v14, v14 row_bcast:15 row_mask:0xa bank_mask:0xf bound_ctrl:1
.Ltmp109:
	.loc	2 263 15                        ; standard.py:263:15 @[ standard.py:293:36 @[ attention_bwd.py:19:19 ] ]
	v_add_f32_e32 v4, v4, v14
	s_nop 1
	v_add_f32_dpp v4, v4, v4 row_bcast:31 row_mask:0xf bank_mask:0xf bound_ctrl:1
.Ltmp110:
	.loc	2 293 36                        ; standard.py:293:36 @[ attention_bwd.py:19:19 ]
	s_nop 0
	v_readlane_b32 s16, v4, 63
	v_mov_b32_dpp v4, v45 row_shr:8 row_mask:0xf bank_mask:0xf bound_ctrl:1
.Ltmp111:
	.loc	2 263 15                        ; standard.py:263:15 @[ standard.py:293:36 @[ attention_bwd.py:19:19 ] ]
	v_fma_mix_f32 v4, v13, v35, v4 op_sel_hi:[1,1,0]
	s_nop 1
	v_add_f32_dpp v4, v4, v4 row_shr:4 row_mask:0xf bank_mask:0xf bound_ctrl:1
	s_nop 1
	v_add_f32_dpp v4, v4, v4 row_shr:2 row_mask:0xf bank_mask:0xf bound_ctrl:1
	;; [unrolled: 2-line block ×3, first 2 shown]
.Ltmp112:
	.loc	2 293 36                        ; standard.py:293:36 @[ attention_bwd.py:19:19 ]
	v_mov_b32_e32 v13, v4
	s_nop 1
	v_mov_b32_dpp v13, v13 row_bcast:15 row_mask:0xa bank_mask:0xf bound_ctrl:1
.Ltmp113:
	.loc	2 263 15                        ; standard.py:263:15 @[ standard.py:293:36 @[ attention_bwd.py:19:19 ] ]
	v_add_f32_e32 v4, v4, v13
	s_nop 1
	v_add_f32_dpp v4, v4, v4 row_bcast:31 row_mask:0xf bank_mask:0xf bound_ctrl:1
.Ltmp114:
	.loc	2 293 36                        ; standard.py:293:36 @[ attention_bwd.py:19:19 ]
	s_nop 0
	v_readlane_b32 s17, v4, 63
	v_mov_b32_dpp v4, v51 row_shr:8 row_mask:0xf bank_mask:0xf bound_ctrl:1
.Ltmp115:
	.loc	2 263 15                        ; standard.py:263:15 @[ standard.py:293:36 @[ attention_bwd.py:19:19 ] ]
	v_fma_mix_f32 v4, v12, v34, v4 op_sel_hi:[1,1,0]
	s_nop 1
	v_add_f32_dpp v4, v4, v4 row_shr:4 row_mask:0xf bank_mask:0xf bound_ctrl:1
	s_nop 1
	v_add_f32_dpp v4, v4, v4 row_shr:2 row_mask:0xf bank_mask:0xf bound_ctrl:1
	;; [unrolled: 2-line block ×3, first 2 shown]
.Ltmp116:
	.loc	2 293 36                        ; standard.py:293:36 @[ attention_bwd.py:19:19 ]
	v_mov_b32_e32 v12, v4
	s_nop 1
	v_mov_b32_dpp v12, v12 row_bcast:15 row_mask:0xa bank_mask:0xf bound_ctrl:1
.Ltmp117:
	.loc	2 263 15                        ; standard.py:263:15 @[ standard.py:293:36 @[ attention_bwd.py:19:19 ] ]
	v_add_f32_e32 v4, v4, v12
	s_nop 1
	v_add_f32_dpp v4, v4, v4 row_bcast:31 row_mask:0xf bank_mask:0xf bound_ctrl:1
.Ltmp118:
	.loc	2 293 36                        ; standard.py:293:36 @[ attention_bwd.py:19:19 ]
	s_nop 0
	v_readlane_b32 s18, v4, 63
	v_mov_b32_dpp v4, v47 row_shr:8 row_mask:0xf bank_mask:0xf bound_ctrl:1
.Ltmp119:
	.loc	2 263 15                        ; standard.py:263:15 @[ standard.py:293:36 @[ attention_bwd.py:19:19 ] ]
	v_fma_mix_f32 v4, v11, v33, v4 op_sel_hi:[1,1,0]
	s_nop 1
	v_add_f32_dpp v4, v4, v4 row_shr:4 row_mask:0xf bank_mask:0xf bound_ctrl:1
	s_nop 1
	v_add_f32_dpp v4, v4, v4 row_shr:2 row_mask:0xf bank_mask:0xf bound_ctrl:1
	;; [unrolled: 2-line block ×3, first 2 shown]
.Ltmp120:
	.loc	2 293 36                        ; standard.py:293:36 @[ attention_bwd.py:19:19 ]
	v_mov_b32_e32 v11, v4
	s_nop 1
	v_mov_b32_dpp v11, v11 row_bcast:15 row_mask:0xa bank_mask:0xf bound_ctrl:1
.Ltmp121:
	.loc	2 263 15                        ; standard.py:263:15 @[ standard.py:293:36 @[ attention_bwd.py:19:19 ] ]
	v_add_f32_e32 v4, v4, v11
	s_nop 1
	v_add_f32_dpp v4, v4, v4 row_bcast:31 row_mask:0xf bank_mask:0xf bound_ctrl:1
.Ltmp122:
	.loc	2 293 36                        ; standard.py:293:36 @[ attention_bwd.py:19:19 ]
	s_nop 0
	v_readlane_b32 s19, v4, 63
	v_mov_b32_dpp v4, v49 row_shr:8 row_mask:0xf bank_mask:0xf bound_ctrl:1
.Ltmp123:
	.loc	2 263 15                        ; standard.py:263:15 @[ standard.py:293:36 @[ attention_bwd.py:19:19 ] ]
	v_fma_mix_f32 v4, v10, v32, v4 op_sel_hi:[1,1,0]
	s_nop 1
	v_add_f32_dpp v4, v4, v4 row_shr:4 row_mask:0xf bank_mask:0xf bound_ctrl:1
	s_nop 1
	v_add_f32_dpp v4, v4, v4 row_shr:2 row_mask:0xf bank_mask:0xf bound_ctrl:1
	;; [unrolled: 2-line block ×3, first 2 shown]
.Ltmp124:
	.loc	2 293 36                        ; standard.py:293:36 @[ attention_bwd.py:19:19 ]
	v_mov_b32_e32 v10, v4
	s_nop 1
	v_mov_b32_dpp v10, v10 row_bcast:15 row_mask:0xa bank_mask:0xf bound_ctrl:1
.Ltmp125:
	.loc	2 263 15                        ; standard.py:263:15 @[ standard.py:293:36 @[ attention_bwd.py:19:19 ] ]
	v_add_f32_e32 v4, v4, v10
	s_nop 1
	v_add_f32_dpp v4, v4, v4 row_bcast:31 row_mask:0xf bank_mask:0xf bound_ctrl:1
.Ltmp126:
	.loc	2 293 36                        ; standard.py:293:36 @[ attention_bwd.py:19:19 ]
	s_nop 0
	v_readlane_b32 s20, v4, 63
	v_mov_b32_dpp v4, v26 row_shr:8 row_mask:0xf bank_mask:0xf bound_ctrl:1
.Ltmp127:
	.loc	2 263 15                        ; standard.py:263:15 @[ standard.py:293:36 @[ attention_bwd.py:19:19 ] ]
	v_fma_mix_f32 v4, v9, v31, v4 op_sel_hi:[1,1,0]
	s_nop 1
	v_add_f32_dpp v4, v4, v4 row_shr:4 row_mask:0xf bank_mask:0xf bound_ctrl:1
	s_nop 1
	v_add_f32_dpp v4, v4, v4 row_shr:2 row_mask:0xf bank_mask:0xf bound_ctrl:1
	;; [unrolled: 2-line block ×3, first 2 shown]
.Ltmp128:
	.loc	2 293 36                        ; standard.py:293:36 @[ attention_bwd.py:19:19 ]
	v_mov_b32_e32 v9, v4
	s_nop 1
	v_mov_b32_dpp v9, v9 row_bcast:15 row_mask:0xa bank_mask:0xf bound_ctrl:1
.Ltmp129:
	.loc	2 263 15                        ; standard.py:263:15 @[ standard.py:293:36 @[ attention_bwd.py:19:19 ] ]
	v_add_f32_e32 v4, v4, v9
	s_nop 1
	v_add_f32_dpp v4, v4, v4 row_bcast:31 row_mask:0xf bank_mask:0xf bound_ctrl:1
.Ltmp130:
	.loc	2 293 36                        ; standard.py:293:36 @[ attention_bwd.py:19:19 ]
	s_nop 0
	v_readlane_b32 s21, v4, 63
	v_mov_b32_dpp v4, v52 row_shr:8 row_mask:0xf bank_mask:0xf bound_ctrl:1
.Ltmp131:
	.loc	2 263 15                        ; standard.py:263:15 @[ standard.py:293:36 @[ attention_bwd.py:19:19 ] ]
	v_fma_mix_f32 v4, v8, v30, v4 op_sel_hi:[1,1,0]
	s_nop 1
	v_add_f32_dpp v4, v4, v4 row_shr:4 row_mask:0xf bank_mask:0xf bound_ctrl:1
	s_nop 1
	v_add_f32_dpp v4, v4, v4 row_shr:2 row_mask:0xf bank_mask:0xf bound_ctrl:1
	;; [unrolled: 2-line block ×3, first 2 shown]
.Ltmp132:
	.loc	2 293 36                        ; standard.py:293:36 @[ attention_bwd.py:19:19 ]
	v_mov_b32_e32 v8, v4
	s_nop 1
	v_mov_b32_dpp v8, v8 row_bcast:15 row_mask:0xa bank_mask:0xf bound_ctrl:1
.Ltmp133:
	.loc	2 263 15                        ; standard.py:263:15 @[ standard.py:293:36 @[ attention_bwd.py:19:19 ] ]
	v_add_f32_e32 v4, v4, v8
	s_nop 1
	v_add_f32_dpp v4, v4, v4 row_bcast:31 row_mask:0xf bank_mask:0xf bound_ctrl:1
.Ltmp134:
	.loc	2 293 36                        ; standard.py:293:36 @[ attention_bwd.py:19:19 ]
	s_nop 0
	v_readlane_b32 s22, v4, 63
	v_mov_b32_dpp v4, v53 row_shr:8 row_mask:0xf bank_mask:0xf bound_ctrl:1
.Ltmp135:
	.loc	2 263 15                        ; standard.py:263:15 @[ standard.py:293:36 @[ attention_bwd.py:19:19 ] ]
	v_fma_mix_f32 v4, v7, v28, v4 op_sel_hi:[1,1,0]
	s_nop 1
	v_add_f32_dpp v4, v4, v4 row_shr:4 row_mask:0xf bank_mask:0xf bound_ctrl:1
	s_nop 1
	v_add_f32_dpp v4, v4, v4 row_shr:2 row_mask:0xf bank_mask:0xf bound_ctrl:1
	;; [unrolled: 2-line block ×3, first 2 shown]
.Ltmp136:
	.loc	2 293 36                        ; standard.py:293:36 @[ attention_bwd.py:19:19 ]
	v_mov_b32_e32 v7, v4
	s_nop 1
	v_mov_b32_dpp v7, v7 row_bcast:15 row_mask:0xa bank_mask:0xf bound_ctrl:1
.Ltmp137:
	.loc	2 263 15                        ; standard.py:263:15 @[ standard.py:293:36 @[ attention_bwd.py:19:19 ] ]
	v_add_f32_e32 v4, v4, v7
.Ltmp138:
	.loc	1 21 45                         ; attention_bwd.py:21:45
	v_mov_b32_e32 v7, s3
.Ltmp139:
	.loc	2 263 15                        ; standard.py:263:15 @[ standard.py:293:36 @[ attention_bwd.py:19:19 ] ]
	s_nop 0
	v_add_f32_dpp v4, v4, v4 row_bcast:31 row_mask:0xf bank_mask:0xf bound_ctrl:1
.Ltmp140:
	.loc	2 293 36                        ; standard.py:293:36 @[ attention_bwd.py:19:19 ]
	s_nop 0
	v_readlane_b32 s23, v4, 63
	v_mov_b32_dpp v4, v54 row_shr:8 row_mask:0xf bank_mask:0xf bound_ctrl:1
.Ltmp141:
	.loc	2 263 15                        ; standard.py:263:15 @[ standard.py:293:36 @[ attention_bwd.py:19:19 ] ]
	v_fma_mix_f32 v4, v6, v39, v4 op_sel_hi:[1,1,0]
	s_nop 1
	v_add_f32_dpp v4, v4, v4 row_shr:4 row_mask:0xf bank_mask:0xf bound_ctrl:1
	s_nop 1
	v_add_f32_dpp v4, v4, v4 row_shr:2 row_mask:0xf bank_mask:0xf bound_ctrl:1
	;; [unrolled: 2-line block ×3, first 2 shown]
.Ltmp142:
	.loc	2 293 36                        ; standard.py:293:36 @[ attention_bwd.py:19:19 ]
	v_mov_b32_e32 v6, v4
	s_nop 1
	v_mov_b32_dpp v6, v6 row_bcast:15 row_mask:0xa bank_mask:0xf bound_ctrl:1
.Ltmp143:
	.loc	2 263 15                        ; standard.py:263:15 @[ standard.py:293:36 @[ attention_bwd.py:19:19 ] ]
	v_add_f32_e32 v4, v4, v6
.Ltmp144:
	.loc	1 21 45                         ; attention_bwd.py:21:45
	v_mov_b32_e32 v6, s2
.Ltmp145:
	.loc	2 263 15                        ; standard.py:263:15 @[ standard.py:293:36 @[ attention_bwd.py:19:19 ] ]
	s_nop 0
	v_add_f32_dpp v4, v4, v4 row_bcast:31 row_mask:0xf bank_mask:0xf bound_ctrl:1
.Ltmp146:
	.loc	2 293 36                        ; standard.py:293:36 @[ attention_bwd.py:19:19 ]
	s_nop 0
	v_readlane_b32 s24, v4, 63
	v_mov_b32_dpp v4, v57 row_shr:8 row_mask:0xf bank_mask:0xf bound_ctrl:1
.Ltmp147:
	.loc	2 263 15                        ; standard.py:263:15 @[ standard.py:293:36 @[ attention_bwd.py:19:19 ] ]
	v_fma_mix_f32 v4, v5, v38, v4 op_sel_hi:[1,1,0]
	s_nop 1
	v_add_f32_dpp v4, v4, v4 row_shr:4 row_mask:0xf bank_mask:0xf bound_ctrl:1
	s_nop 1
	v_add_f32_dpp v4, v4, v4 row_shr:2 row_mask:0xf bank_mask:0xf bound_ctrl:1
	;; [unrolled: 2-line block ×3, first 2 shown]
.Ltmp148:
	.loc	2 293 36                        ; standard.py:293:36 @[ attention_bwd.py:19:19 ]
	v_mov_b32_e32 v5, v4
	s_nop 1
	v_mov_b32_dpp v5, v5 row_bcast:15 row_mask:0xa bank_mask:0xf bound_ctrl:1
.Ltmp149:
	.loc	2 263 15                        ; standard.py:263:15 @[ standard.py:293:36 @[ attention_bwd.py:19:19 ] ]
	v_add_f32_e32 v4, v4, v5
.Ltmp150:
	.loc	1 21 45                         ; attention_bwd.py:21:45
	v_mov_b32_e32 v5, s1
.Ltmp151:
	.loc	2 263 15                        ; standard.py:263:15 @[ standard.py:293:36 @[ attention_bwd.py:19:19 ] ]
	s_nop 0
	v_add_f32_dpp v4, v4, v4 row_bcast:31 row_mask:0xf bank_mask:0xf bound_ctrl:1
.Ltmp152:
	.loc	2 293 36                        ; standard.py:293:36 @[ attention_bwd.py:19:19 ]
	s_nop 0
	v_readlane_b32 s25, v4, 63
	v_mov_b32_dpp v4, v58 row_shr:8 row_mask:0xf bank_mask:0xf bound_ctrl:1
.Ltmp153:
	.loc	2 263 15                        ; standard.py:263:15 @[ standard.py:293:36 @[ attention_bwd.py:19:19 ] ]
	v_fma_mix_f32 v3, v3, v37, v4 op_sel_hi:[1,1,0]
	s_nop 1
	v_add_f32_dpp v3, v3, v3 row_shr:4 row_mask:0xf bank_mask:0xf bound_ctrl:1
	s_nop 1
	v_add_f32_dpp v3, v3, v3 row_shr:2 row_mask:0xf bank_mask:0xf bound_ctrl:1
	;; [unrolled: 2-line block ×3, first 2 shown]
.Ltmp154:
	.loc	2 293 36                        ; standard.py:293:36 @[ attention_bwd.py:19:19 ]
	v_mov_b32_e32 v4, v3
	s_nop 1
	v_mov_b32_dpp v4, v4 row_bcast:15 row_mask:0xa bank_mask:0xf bound_ctrl:1
.Ltmp155:
	.loc	2 263 15                        ; standard.py:263:15 @[ standard.py:293:36 @[ attention_bwd.py:19:19 ] ]
	v_add_f32_e32 v3, v3, v4
.Ltmp156:
	.loc	1 21 45                         ; attention_bwd.py:21:45
	v_mov_b32_e32 v4, s0
	v_readlane_b32 s0, v76, 4
.Ltmp157:
	.loc	2 263 15                        ; standard.py:263:15 @[ standard.py:293:36 @[ attention_bwd.py:19:19 ] ]
	v_add_f32_dpp v3, v3, v3 row_bcast:31 row_mask:0xf bank_mask:0xf bound_ctrl:1
.Ltmp158:
	.loc	1 21 45                         ; attention_bwd.py:21:45
	s_bitcmp1_b32 s0, 7
.Ltmp159:
	.loc	2 293 36                        ; standard.py:293:36 @[ attention_bwd.py:19:19 ]
	v_readlane_b32 s26, v3, 63
	v_mov_b32_dpp v3, v67 row_shr:8 row_mask:0xf bank_mask:0xf bound_ctrl:1
.Ltmp160:
	.loc	2 263 15                        ; standard.py:263:15 @[ standard.py:293:36 @[ attention_bwd.py:19:19 ] ]
	v_fma_mix_f32 v2, v2, v36, v3 op_sel_hi:[1,1,0]
	s_nop 1
	v_add_f32_dpp v2, v2, v2 row_shr:4 row_mask:0xf bank_mask:0xf bound_ctrl:1
	s_nop 1
	v_add_f32_dpp v2, v2, v2 row_shr:2 row_mask:0xf bank_mask:0xf bound_ctrl:1
	;; [unrolled: 2-line block ×3, first 2 shown]
.Ltmp161:
	.loc	2 293 36                        ; standard.py:293:36 @[ attention_bwd.py:19:19 ]
	v_mov_b32_e32 v3, v2
	s_nop 1
	v_mov_b32_dpp v3, v3 row_bcast:15 row_mask:0xa bank_mask:0xf bound_ctrl:1
.Ltmp162:
	.loc	2 263 15                        ; standard.py:263:15 @[ standard.py:293:36 @[ attention_bwd.py:19:19 ] ]
	v_add_f32_e32 v2, v2, v3
	s_nop 1
	v_add_f32_dpp v2, v2, v2 row_bcast:31 row_mask:0xf bank_mask:0xf bound_ctrl:1
.Ltmp163:
	.loc	2 293 36                        ; standard.py:293:36 @[ attention_bwd.py:19:19 ]
	s_nop 0
	v_readlane_b32 s27, v2, 63
	v_mov_b32_dpp v2, v68 row_shr:8 row_mask:0xf bank_mask:0xf bound_ctrl:1
.Ltmp164:
	.loc	2 263 15                        ; standard.py:263:15 @[ standard.py:293:36 @[ attention_bwd.py:19:19 ] ]
	v_fma_mix_f32 v2, v62, v59, v2 op_sel_hi:[1,1,0]
	s_nop 1
	v_add_f32_dpp v2, v2, v2 row_shr:4 row_mask:0xf bank_mask:0xf bound_ctrl:1
	s_nop 1
	v_add_f32_dpp v2, v2, v2 row_shr:2 row_mask:0xf bank_mask:0xf bound_ctrl:1
	;; [unrolled: 2-line block ×3, first 2 shown]
.Ltmp165:
	.loc	2 293 36                        ; standard.py:293:36 @[ attention_bwd.py:19:19 ]
	v_mov_b32_e32 v3, v2
	s_nop 1
	v_mov_b32_dpp v3, v3 row_bcast:15 row_mask:0xa bank_mask:0xf bound_ctrl:1
.Ltmp166:
	.loc	2 263 15                        ; standard.py:263:15 @[ standard.py:293:36 @[ attention_bwd.py:19:19 ] ]
	v_add_f32_e32 v2, v2, v3
	s_nop 1
	v_add_f32_dpp v2, v2, v2 row_bcast:31 row_mask:0xf bank_mask:0xf bound_ctrl:1
.Ltmp167:
	.loc	2 293 36                        ; standard.py:293:36 @[ attention_bwd.py:19:19 ]
	s_nop 0
	v_readlane_b32 s28, v2, 63
	v_mov_b32_dpp v2, v69 row_shr:8 row_mask:0xf bank_mask:0xf bound_ctrl:1
.Ltmp168:
	.loc	2 263 15                        ; standard.py:263:15 @[ standard.py:293:36 @[ attention_bwd.py:19:19 ] ]
	v_fma_mix_f32 v2, v63, v60, v2 op_sel_hi:[1,1,0]
	s_nop 1
	v_add_f32_dpp v2, v2, v2 row_shr:4 row_mask:0xf bank_mask:0xf bound_ctrl:1
	s_nop 1
	v_add_f32_dpp v2, v2, v2 row_shr:2 row_mask:0xf bank_mask:0xf bound_ctrl:1
	s_nop 1
	v_add_f32_dpp v2, v2, v2 row_shr:1 row_mask:0xf bank_mask:0xf bound_ctrl:1
.Ltmp169:
	.loc	2 293 36                        ; standard.py:293:36 @[ attention_bwd.py:19:19 ]
	v_mov_b32_e32 v3, v2
	s_nop 1
	v_mov_b32_dpp v3, v3 row_bcast:15 row_mask:0xa bank_mask:0xf bound_ctrl:1
.Ltmp170:
	.loc	2 263 15                        ; standard.py:263:15 @[ standard.py:293:36 @[ attention_bwd.py:19:19 ] ]
	v_add_f32_e32 v2, v2, v3
	s_nop 1
	v_add_f32_dpp v2, v2, v2 row_bcast:31 row_mask:0xf bank_mask:0xf bound_ctrl:1
.Ltmp171:
	.loc	2 293 36                        ; standard.py:293:36 @[ attention_bwd.py:19:19 ]
	s_nop 0
	v_readlane_b32 s29, v2, 63
	v_mov_b32_dpp v2, v70 row_shr:8 row_mask:0xf bank_mask:0xf bound_ctrl:1
.Ltmp172:
	.loc	2 263 15                        ; standard.py:263:15 @[ standard.py:293:36 @[ attention_bwd.py:19:19 ] ]
	v_fma_mix_f32 v2, v64, v61, v2 op_sel_hi:[1,1,0]
	s_nop 1
	v_add_f32_dpp v2, v2, v2 row_shr:4 row_mask:0xf bank_mask:0xf bound_ctrl:1
	s_nop 1
	v_add_f32_dpp v2, v2, v2 row_shr:2 row_mask:0xf bank_mask:0xf bound_ctrl:1
	;; [unrolled: 2-line block ×3, first 2 shown]
.Ltmp173:
	.loc	2 293 36                        ; standard.py:293:36 @[ attention_bwd.py:19:19 ]
	v_mov_b32_e32 v3, v2
	s_nop 1
	v_mov_b32_dpp v3, v3 row_bcast:15 row_mask:0xa bank_mask:0xf bound_ctrl:1
.Ltmp174:
	.loc	2 263 15                        ; standard.py:263:15 @[ standard.py:293:36 @[ attention_bwd.py:19:19 ] ]
	v_add_f32_e32 v2, v2, v3
	s_nop 1
	v_add_f32_dpp v2, v2, v2 row_bcast:31 row_mask:0xf bank_mask:0xf bound_ctrl:1
.Ltmp175:
	.loc	2 293 36                        ; standard.py:293:36 @[ attention_bwd.py:19:19 ]
	s_nop 0
	v_readlane_b32 s30, v2, 63
	v_mov_b32_dpp v2, v71 row_shr:8 row_mask:0xf bank_mask:0xf bound_ctrl:1
.Ltmp176:
	.loc	2 263 15                        ; standard.py:263:15 @[ standard.py:293:36 @[ attention_bwd.py:19:19 ] ]
	v_fma_mix_f32 v2, v66, v65, v2 op_sel_hi:[1,1,0]
	s_nop 1
	v_add_f32_dpp v2, v2, v2 row_shr:4 row_mask:0xf bank_mask:0xf bound_ctrl:1
	s_nop 1
	v_add_f32_dpp v2, v2, v2 row_shr:2 row_mask:0xf bank_mask:0xf bound_ctrl:1
	;; [unrolled: 2-line block ×3, first 2 shown]
.Ltmp177:
	.loc	2 293 36                        ; standard.py:293:36 @[ attention_bwd.py:19:19 ]
	v_mov_b32_e32 v3, v2
	s_nop 1
	v_mov_b32_dpp v3, v3 row_bcast:15 row_mask:0xa bank_mask:0xf bound_ctrl:1
.Ltmp178:
	.loc	2 263 15                        ; standard.py:263:15 @[ standard.py:293:36 @[ attention_bwd.py:19:19 ] ]
	v_add_f32_e32 v2, v2, v3
	s_nop 1
	v_add_f32_dpp v2, v2, v2 row_bcast:31 row_mask:0xf bank_mask:0xf bound_ctrl:1
.Ltmp179:
	.loc	2 293 36                        ; standard.py:293:36 @[ attention_bwd.py:19:19 ]
	s_nop 0
	v_readlane_b32 s31, v2, 63
.Ltmp180:
	.loc	1 21 45                         ; attention_bwd.py:21:45
	v_mov_b32_e32 v2, s33
	ds_write_b128 v2, v[4:7]
	v_mov_b32_e32 v4, s4
	v_mov_b32_e32 v5, s5
	v_mov_b32_e32 v6, s6
	v_mov_b32_e32 v7, s7
	ds_write_b128 v2, v[4:7] offset:16
	v_mov_b32_e32 v4, s8
	v_mov_b32_e32 v5, s9
	v_mov_b32_e32 v6, s10
	v_mov_b32_e32 v7, s11
	ds_write_b128 v2, v[4:7] offset:32
	;; [unrolled: 5-line block ×7, first 2 shown]
	s_waitcnt lgkmcnt(0)
	s_barrier
	s_cbranch_scc1 .LBB0_2
; %bb.1:
	s_lshl_b32 s0, s0, 2
	v_lshlrev_b32_e32 v2, 6, v0
	s_and_b32 s0, s0, 0x100
	v_and_b32_e32 v2, 0xc0, v2
	s_add_i32 s0, s0, 0
	v_and_b32_e32 v0, 60, v0
	v_add3_u32 v0, s0, v2, v0
	v_readlane_b32 s0, v76, 7
	v_readlane_b32 s1, v76, 8
	.loc	1 21 21 is_stmt 0               ; attention_bwd.py:21:21
	s_ashr_i32 s1, s0, 31
	s_lshl_b64 s[0:1], s[0:1], 2
	v_readlane_b32 s2, v76, 0
	s_add_u32 s0, s2, s0
	.loc	1 21 45                         ; attention_bwd.py:21:45
	ds_read_b32 v2, v0
	.loc	1 13 54 is_stmt 1               ; attention_bwd.py:13:54
	v_readlane_b32 s2, v76, 6
	v_readlane_b32 s3, v76, 1
	.loc	1 21 21                         ; attention_bwd.py:21:21
	s_addc_u32 s1, s3, s1
	.loc	1 13 54                         ; attention_bwd.py:13:54
	v_or_b32_e32 v0, s2, v1
	.loc	1 13 41 is_stmt 0               ; attention_bwd.py:13:41
	v_or_b32_e32 v0, s34, v0
	.loc	1 21 38 is_stmt 1               ; attention_bwd.py:21:38
	v_ashrrev_i32_e32 v1, 31, v0
	v_lshl_add_u64 v[0:1], v[0:1], 2, s[0:1]
	.loc	1 21 45 is_stmt 0               ; attention_bwd.py:21:45
	s_waitcnt lgkmcnt(0)
	global_store_dword v[0:1], v2, off
.LBB0_2:
	.loc	1 21 4                          ; attention_bwd.py:21:4
	s_endpgm
.Ltmp181:
	.section	.rodata,"a",@progbits
	.p2align	6, 0x0
	.amdhsa_kernel _attn_bwd_preprocess
		.amdhsa_group_segment_fixed_size 0
		.amdhsa_private_segment_fixed_size 0
		.amdhsa_kernarg_size 56
		.amdhsa_user_sgpr_count 16
		.amdhsa_user_sgpr_dispatch_ptr 0
		.amdhsa_user_sgpr_queue_ptr 0
		.amdhsa_user_sgpr_kernarg_segment_ptr 1
		.amdhsa_user_sgpr_dispatch_id 0
		.amdhsa_user_sgpr_kernarg_preload_length 14
		.amdhsa_user_sgpr_kernarg_preload_offset 0
		.amdhsa_user_sgpr_private_segment_size 0
		.amdhsa_uses_dynamic_stack 0
		.amdhsa_enable_private_segment 0
		.amdhsa_system_sgpr_workgroup_id_x 1
		.amdhsa_system_sgpr_workgroup_id_y 1
		.amdhsa_system_sgpr_workgroup_id_z 0
		.amdhsa_system_sgpr_workgroup_info 0
		.amdhsa_system_vgpr_workitem_id 0
		.amdhsa_next_free_vgpr 77
		.amdhsa_next_free_sgpr 100
		.amdhsa_accum_offset 80
		.amdhsa_reserve_vcc 1
		.amdhsa_reserve_xnack_mask 1
		.amdhsa_float_round_mode_32 0
		.amdhsa_float_round_mode_16_64 0
		.amdhsa_float_denorm_mode_32 3
		.amdhsa_float_denorm_mode_16_64 3
		.amdhsa_dx10_clamp 1
		.amdhsa_ieee_mode 1
		.amdhsa_fp16_overflow 0
		.amdhsa_tg_split 0
		.amdhsa_exception_fp_ieee_invalid_op 0
		.amdhsa_exception_fp_denorm_src 0
		.amdhsa_exception_fp_ieee_div_zero 0
		.amdhsa_exception_fp_ieee_overflow 0
		.amdhsa_exception_fp_ieee_underflow 0
		.amdhsa_exception_fp_ieee_inexact 0
		.amdhsa_exception_int_div_zero 0
	.end_amdhsa_kernel
	.text
.Lfunc_end0:
	.size	_attn_bwd_preprocess, .Lfunc_end0-_attn_bwd_preprocess
	.cfi_endproc
                                        ; -- End function
	.set _attn_bwd_preprocess.num_vgpr, 77
	.set _attn_bwd_preprocess.num_agpr, 0
	.set _attn_bwd_preprocess.numbered_sgpr, 100
	.set _attn_bwd_preprocess.num_named_barrier, 0
	.set _attn_bwd_preprocess.private_seg_size, 0
	.set _attn_bwd_preprocess.uses_vcc, 1
	.set _attn_bwd_preprocess.uses_flat_scratch, 0
	.set _attn_bwd_preprocess.has_dyn_sized_stack, 0
	.set _attn_bwd_preprocess.has_recursion, 0
	.set _attn_bwd_preprocess.has_indirect_call, 0
	.section	.AMDGPU.csdata,"",@progbits
; Kernel info:
; codeLenInByte = 5548
; TotalNumSgprs: 106
; NumVgprs: 77
; NumAgprs: 0
; TotalNumVgprs: 77
; ScratchSize: 0
; MemoryBound: 0
; FloatMode: 240
; IeeeMode: 1
; LDSByteSize: 0 bytes/workgroup (compile time only)
; SGPRBlocks: 13
; VGPRBlocks: 9
; NumSGPRsForWavesPerEU: 106
; NumVGPRsForWavesPerEU: 77
; AccumOffset: 80
; Occupancy: 6
; WaveLimiterHint : 1
; COMPUTE_PGM_RSRC2:SCRATCH_EN: 0
; COMPUTE_PGM_RSRC2:USER_SGPR: 16
; COMPUTE_PGM_RSRC2:TRAP_HANDLER: 0
; COMPUTE_PGM_RSRC2:TGID_X_EN: 1
; COMPUTE_PGM_RSRC2:TGID_Y_EN: 1
; COMPUTE_PGM_RSRC2:TGID_Z_EN: 0
; COMPUTE_PGM_RSRC2:TIDIG_COMP_CNT: 0
; COMPUTE_PGM_RSRC3_GFX90A:ACCUM_OFFSET: 19
; COMPUTE_PGM_RSRC3_GFX90A:TG_SPLIT: 0
	.text
	.p2alignl 6, 3212836864
	.fill 256, 4, 3212836864
	.section	.AMDGPU.gpr_maximums,"",@progbits
	.set amdgpu.max_num_vgpr, 0
	.set amdgpu.max_num_agpr, 0
	.set amdgpu.max_num_sgpr, 0
	.set amdgpu.max_num_named_barrier, 0
	.text
	.section	.debug_abbrev,"",@progbits
	.byte	1                               ; Abbreviation Code
	.byte	17                              ; DW_TAG_compile_unit
	.byte	1                               ; DW_CHILDREN_yes
	.byte	37                              ; DW_AT_producer
	.byte	14                              ; DW_FORM_strp
	.byte	19                              ; DW_AT_language
	.byte	5                               ; DW_FORM_data2
	.byte	3                               ; DW_AT_name
	.byte	14                              ; DW_FORM_strp
	.byte	16                              ; DW_AT_stmt_list
	.byte	23                              ; DW_FORM_sec_offset
	.byte	27                              ; DW_AT_comp_dir
	.byte	14                              ; DW_FORM_strp
	.byte	17                              ; DW_AT_low_pc
	.byte	1                               ; DW_FORM_addr
	.byte	18                              ; DW_AT_high_pc
	.byte	6                               ; DW_FORM_data4
	.byte	0                               ; EOM(1)
	.byte	0                               ; EOM(2)
	.byte	2                               ; Abbreviation Code
	.byte	46                              ; DW_TAG_subprogram
	.byte	0                               ; DW_CHILDREN_no
	.byte	3                               ; DW_AT_name
	.byte	14                              ; DW_FORM_strp
	.byte	32                              ; DW_AT_inline
	.byte	11                              ; DW_FORM_data1
	.byte	0                               ; EOM(1)
	.byte	0                               ; EOM(2)
	.byte	3                               ; Abbreviation Code
	.byte	46                              ; DW_TAG_subprogram
	.byte	1                               ; DW_CHILDREN_yes
	.byte	17                              ; DW_AT_low_pc
	.byte	1                               ; DW_FORM_addr
	.byte	18                              ; DW_AT_high_pc
	.byte	6                               ; DW_FORM_data4
	.byte	49                              ; DW_AT_abstract_origin
	.byte	19                              ; DW_FORM_ref4
	.byte	0                               ; EOM(1)
	.byte	0                               ; EOM(2)
	.byte	4                               ; Abbreviation Code
	.byte	29                              ; DW_TAG_inlined_subroutine
	.byte	1                               ; DW_CHILDREN_yes
	.byte	49                              ; DW_AT_abstract_origin
	.byte	19                              ; DW_FORM_ref4
	.byte	85                              ; DW_AT_ranges
	.byte	23                              ; DW_FORM_sec_offset
	.byte	88                              ; DW_AT_call_file
	.byte	11                              ; DW_FORM_data1
	.byte	89                              ; DW_AT_call_line
	.byte	11                              ; DW_FORM_data1
	.byte	87                              ; DW_AT_call_column
	.byte	11                              ; DW_FORM_data1
	.byte	0                               ; EOM(1)
	.byte	0                               ; EOM(2)
	.byte	5                               ; Abbreviation Code
	.byte	29                              ; DW_TAG_inlined_subroutine
	.byte	0                               ; DW_CHILDREN_no
	.byte	49                              ; DW_AT_abstract_origin
	.byte	19                              ; DW_FORM_ref4
	.byte	85                              ; DW_AT_ranges
	.byte	23                              ; DW_FORM_sec_offset
	.byte	88                              ; DW_AT_call_file
	.byte	11                              ; DW_FORM_data1
	.byte	89                              ; DW_AT_call_line
	.byte	5                               ; DW_FORM_data2
	.byte	87                              ; DW_AT_call_column
	.byte	11                              ; DW_FORM_data1
	.byte	0                               ; EOM(1)
	.byte	0                               ; EOM(2)
	;; [unrolled: 1-line block ×3, first 2 shown]
	.section	.debug_info,"",@progbits
.Lcu_begin0:
	.long	.Ldebug_info_end0-.Ldebug_info_start0 ; Length of Unit
.Ldebug_info_start0:
	.short	4                               ; DWARF version number
	.long	.debug_abbrev                   ; Offset Into Abbrev. Section
	.byte	8                               ; Address Size (in bytes)
	.byte	1                               ; Abbrev [1] 0xb:0x52 DW_TAG_compile_unit
	.long	.Linfo_string0                  ; DW_AT_producer
	.short	2                               ; DW_AT_language
	.long	.Linfo_string1                  ; DW_AT_name
	.long	.Lline_table_start0             ; DW_AT_stmt_list
	.long	.Linfo_string2                  ; DW_AT_comp_dir
	.quad	.Lfunc_begin0                   ; DW_AT_low_pc
	.long	.Lfunc_end0-.Lfunc_begin0       ; DW_AT_high_pc
	.byte	2                               ; Abbrev [2] 0x2a:0x6 DW_TAG_subprogram
	.long	.Linfo_string3                  ; DW_AT_name
	.byte	1                               ; DW_AT_inline
	.byte	3                               ; Abbrev [3] 0x30:0x2c DW_TAG_subprogram
	.quad	.Lfunc_begin0                   ; DW_AT_low_pc
	.long	.Lfunc_end0-.Lfunc_begin0       ; DW_AT_high_pc
	.long	42                              ; DW_AT_abstract_origin
	.byte	4                               ; Abbrev [4] 0x41:0x1a DW_TAG_inlined_subroutine
	.long	42                              ; DW_AT_abstract_origin
	.long	.Ldebug_ranges0                 ; DW_AT_ranges
	.byte	1                               ; DW_AT_call_file
	.byte	19                              ; DW_AT_call_line
	.byte	19                              ; DW_AT_call_column
	.byte	5                               ; Abbrev [5] 0x4d:0xd DW_TAG_inlined_subroutine
	.long	42                              ; DW_AT_abstract_origin
	.long	.Ldebug_ranges1                 ; DW_AT_ranges
	.byte	2                               ; DW_AT_call_file
	.short	293                             ; DW_AT_call_line
	.byte	36                              ; DW_AT_call_column
	.byte	0                               ; End Of Children Mark
	.byte	0                               ; End Of Children Mark
	;; [unrolled: 1-line block ×3, first 2 shown]
.Ldebug_info_end0:
	.section	.debug_ranges,"",@progbits
.Ldebug_ranges0:
	.quad	.Ltmp2-.Lfunc_begin0
	.quad	.Ltmp4-.Lfunc_begin0
	;; [unrolled: 1-line block ×54, first 2 shown]
	.quad	0
	.quad	0
.Ldebug_ranges1:
	.quad	.Ltmp3-.Lfunc_begin0
	.quad	.Ltmp4-.Lfunc_begin0
	.quad	.Ltmp6-.Lfunc_begin0
	.quad	.Ltmp7-.Lfunc_begin0
	.quad	.Ltmp8-.Lfunc_begin0
	.quad	.Ltmp9-.Lfunc_begin0
	.quad	.Ltmp11-.Lfunc_begin0
	.quad	.Ltmp12-.Lfunc_begin0
	.quad	.Ltmp15-.Lfunc_begin0
	.quad	.Ltmp16-.Lfunc_begin0
	.quad	.Ltmp20-.Lfunc_begin0
	.quad	.Ltmp21-.Lfunc_begin0
	.quad	.Ltmp22-.Lfunc_begin0
	.quad	.Ltmp23-.Lfunc_begin0
	.quad	.Ltmp25-.Lfunc_begin0
	.quad	.Ltmp26-.Lfunc_begin0
	.quad	.Ltmp28-.Lfunc_begin0
	.quad	.Ltmp29-.Lfunc_begin0
	.quad	.Ltmp32-.Lfunc_begin0
	.quad	.Ltmp33-.Lfunc_begin0
	.quad	.Ltmp35-.Lfunc_begin0
	.quad	.Ltmp36-.Lfunc_begin0
	.quad	.Ltmp37-.Lfunc_begin0
	.quad	.Ltmp38-.Lfunc_begin0
	.quad	.Ltmp41-.Lfunc_begin0
	.quad	.Ltmp42-.Lfunc_begin0
	.quad	.Ltmp43-.Lfunc_begin0
	.quad	.Ltmp44-.Lfunc_begin0
	.quad	.Ltmp45-.Lfunc_begin0
	.quad	.Ltmp46-.Lfunc_begin0
	.quad	.Ltmp47-.Lfunc_begin0
	.quad	.Ltmp48-.Lfunc_begin0
	.quad	.Ltmp49-.Lfunc_begin0
	.quad	.Ltmp50-.Lfunc_begin0
	.quad	.Ltmp51-.Lfunc_begin0
	.quad	.Ltmp52-.Lfunc_begin0
	.quad	.Ltmp53-.Lfunc_begin0
	.quad	.Ltmp54-.Lfunc_begin0
	.quad	.Ltmp55-.Lfunc_begin0
	.quad	.Ltmp56-.Lfunc_begin0
	.quad	.Ltmp57-.Lfunc_begin0
	.quad	.Ltmp58-.Lfunc_begin0
	.quad	.Ltmp59-.Lfunc_begin0
	.quad	.Ltmp60-.Lfunc_begin0
	.quad	.Ltmp61-.Lfunc_begin0
	.quad	.Ltmp62-.Lfunc_begin0
	.quad	.Ltmp63-.Lfunc_begin0
	.quad	.Ltmp64-.Lfunc_begin0
	.quad	.Ltmp65-.Lfunc_begin0
	.quad	.Ltmp66-.Lfunc_begin0
	.quad	.Ltmp67-.Lfunc_begin0
	.quad	.Ltmp68-.Lfunc_begin0
	.quad	.Ltmp69-.Lfunc_begin0
	.quad	.Ltmp70-.Lfunc_begin0
	.quad	.Ltmp71-.Lfunc_begin0
	.quad	.Ltmp72-.Lfunc_begin0
	.quad	.Ltmp75-.Lfunc_begin0
	.quad	.Ltmp76-.Lfunc_begin0
	.quad	.Ltmp77-.Lfunc_begin0
	.quad	.Ltmp78-.Lfunc_begin0
	.quad	.Ltmp79-.Lfunc_begin0
	.quad	.Ltmp80-.Lfunc_begin0
	.quad	.Ltmp81-.Lfunc_begin0
	.quad	.Ltmp82-.Lfunc_begin0
	.quad	.Ltmp83-.Lfunc_begin0
	.quad	.Ltmp84-.Lfunc_begin0
	.quad	.Ltmp85-.Lfunc_begin0
	.quad	.Ltmp86-.Lfunc_begin0
	.quad	.Ltmp87-.Lfunc_begin0
	.quad	.Ltmp88-.Lfunc_begin0
	.quad	.Ltmp89-.Lfunc_begin0
	.quad	.Ltmp90-.Lfunc_begin0
	.quad	.Ltmp91-.Lfunc_begin0
	.quad	.Ltmp92-.Lfunc_begin0
	.quad	.Ltmp93-.Lfunc_begin0
	.quad	.Ltmp94-.Lfunc_begin0
	.quad	.Ltmp95-.Lfunc_begin0
	.quad	.Ltmp96-.Lfunc_begin0
	.quad	.Ltmp97-.Lfunc_begin0
	.quad	.Ltmp98-.Lfunc_begin0
	.quad	.Ltmp99-.Lfunc_begin0
	.quad	.Ltmp100-.Lfunc_begin0
	.quad	.Ltmp101-.Lfunc_begin0
	.quad	.Ltmp102-.Lfunc_begin0
	.quad	.Ltmp103-.Lfunc_begin0
	.quad	.Ltmp104-.Lfunc_begin0
	.quad	.Ltmp105-.Lfunc_begin0
	.quad	.Ltmp106-.Lfunc_begin0
	.quad	.Ltmp107-.Lfunc_begin0
	.quad	.Ltmp108-.Lfunc_begin0
	.quad	.Ltmp109-.Lfunc_begin0
	.quad	.Ltmp110-.Lfunc_begin0
	.quad	.Ltmp111-.Lfunc_begin0
	.quad	.Ltmp112-.Lfunc_begin0
	.quad	.Ltmp113-.Lfunc_begin0
	.quad	.Ltmp114-.Lfunc_begin0
	.quad	.Ltmp115-.Lfunc_begin0
	.quad	.Ltmp116-.Lfunc_begin0
	.quad	.Ltmp117-.Lfunc_begin0
	.quad	.Ltmp118-.Lfunc_begin0
	.quad	.Ltmp119-.Lfunc_begin0
	.quad	.Ltmp120-.Lfunc_begin0
	.quad	.Ltmp121-.Lfunc_begin0
	.quad	.Ltmp122-.Lfunc_begin0
	.quad	.Ltmp123-.Lfunc_begin0
	.quad	.Ltmp124-.Lfunc_begin0
	.quad	.Ltmp125-.Lfunc_begin0
	.quad	.Ltmp126-.Lfunc_begin0
	.quad	.Ltmp127-.Lfunc_begin0
	.quad	.Ltmp128-.Lfunc_begin0
	.quad	.Ltmp129-.Lfunc_begin0
	.quad	.Ltmp130-.Lfunc_begin0
	.quad	.Ltmp131-.Lfunc_begin0
	.quad	.Ltmp132-.Lfunc_begin0
	.quad	.Ltmp133-.Lfunc_begin0
	.quad	.Ltmp134-.Lfunc_begin0
	.quad	.Ltmp135-.Lfunc_begin0
	.quad	.Ltmp136-.Lfunc_begin0
	.quad	.Ltmp137-.Lfunc_begin0
	.quad	.Ltmp138-.Lfunc_begin0
	.quad	.Ltmp139-.Lfunc_begin0
	.quad	.Ltmp140-.Lfunc_begin0
	.quad	.Ltmp141-.Lfunc_begin0
	.quad	.Ltmp142-.Lfunc_begin0
	.quad	.Ltmp143-.Lfunc_begin0
	.quad	.Ltmp144-.Lfunc_begin0
	.quad	.Ltmp145-.Lfunc_begin0
	.quad	.Ltmp146-.Lfunc_begin0
	.quad	.Ltmp147-.Lfunc_begin0
	.quad	.Ltmp148-.Lfunc_begin0
	.quad	.Ltmp149-.Lfunc_begin0
	.quad	.Ltmp150-.Lfunc_begin0
	.quad	.Ltmp151-.Lfunc_begin0
	.quad	.Ltmp152-.Lfunc_begin0
	.quad	.Ltmp153-.Lfunc_begin0
	.quad	.Ltmp154-.Lfunc_begin0
	.quad	.Ltmp155-.Lfunc_begin0
	.quad	.Ltmp156-.Lfunc_begin0
	.quad	.Ltmp157-.Lfunc_begin0
	.quad	.Ltmp158-.Lfunc_begin0
	.quad	.Ltmp160-.Lfunc_begin0
	.quad	.Ltmp161-.Lfunc_begin0
	.quad	.Ltmp162-.Lfunc_begin0
	.quad	.Ltmp163-.Lfunc_begin0
	.quad	.Ltmp164-.Lfunc_begin0
	.quad	.Ltmp165-.Lfunc_begin0
	.quad	.Ltmp166-.Lfunc_begin0
	.quad	.Ltmp167-.Lfunc_begin0
	.quad	.Ltmp168-.Lfunc_begin0
	.quad	.Ltmp169-.Lfunc_begin0
	.quad	.Ltmp170-.Lfunc_begin0
	.quad	.Ltmp171-.Lfunc_begin0
	.quad	.Ltmp172-.Lfunc_begin0
	.quad	.Ltmp173-.Lfunc_begin0
	.quad	.Ltmp174-.Lfunc_begin0
	.quad	.Ltmp175-.Lfunc_begin0
	.quad	.Ltmp176-.Lfunc_begin0
	.quad	.Ltmp177-.Lfunc_begin0
	.quad	.Ltmp178-.Lfunc_begin0
	.quad	.Ltmp179-.Lfunc_begin0
	.quad	0
	.quad	0
	.section	.debug_str,"MS",@progbits,1
.Linfo_string0:
	.asciz	"triton"                        ; string offset=0
.Linfo_string1:
	.asciz	"attention_bwd.py"              ; string offset=7
.Linfo_string2:
	.asciz	"/root/src/amdgpu-assembly/repos/triton-lang__triton-aot" ; string offset=24
.Linfo_string3:
	.asciz	"_attn_bwd_preprocess"          ; string offset=80
	.section	".note.GNU-stack","",@progbits
	.amdgpu_metadata
---
amdhsa.kernels:
  - .agpr_count:     0
    .args:
      - .address_space:  global
        .offset:         0
        .size:           8
        .value_kind:     global_buffer
      - .address_space:  global
        .offset:         8
        .size:           8
        .value_kind:     global_buffer
      - .address_space:  global
        .offset:         16
        .size:           8
        .value_kind:     global_buffer
      - .offset:         24
        .size:           4
        .value_kind:     by_value
      - .offset:         28
        .size:           4
        .value_kind:     by_value
      - .offset:         32
        .size:           4
        .value_kind:     by_value
      - .address_space:  global
        .offset:         40
        .size:           8
        .value_kind:     global_buffer
      - .address_space:  global
        .offset:         48
        .size:           8
        .value_kind:     global_buffer
    .group_segment_fixed_size: 0
    .kernarg_segment_align: 8
    .kernarg_segment_size: 56
    .max_flat_workgroup_size: 256
    .name:           _attn_bwd_preprocess
    .private_segment_fixed_size: 0
    .sgpr_count:     106
    .sgpr_spill_count: 13
    .symbol:         _attn_bwd_preprocess.kd
    .uniform_work_group_size: 1
    .uses_dynamic_stack: false
    .vgpr_count:     77
    .vgpr_spill_count: 0
    .wavefront_size: 64
amdhsa.target:   amdgcn-amd-amdhsa--gfx950
amdhsa.version:
  - 1
  - 2
...

	.end_amdgpu_metadata
	.section	.debug_line,"",@progbits
.Lline_table_start0:
